;; amdgpu-corpus repo=ROCm/rocFFT kind=compiled arch=gfx1201 opt=O3
	.text
	.amdgcn_target "amdgcn-amd-amdhsa--gfx1201"
	.amdhsa_code_object_version 6
	.protected	bluestein_single_back_len1650_dim1_half_op_CI_CI ; -- Begin function bluestein_single_back_len1650_dim1_half_op_CI_CI
	.globl	bluestein_single_back_len1650_dim1_half_op_CI_CI
	.p2align	8
	.type	bluestein_single_back_len1650_dim1_half_op_CI_CI,@function
bluestein_single_back_len1650_dim1_half_op_CI_CI: ; @bluestein_single_back_len1650_dim1_half_op_CI_CI
; %bb.0:
	s_load_b128 s[12:15], s[0:1], 0x28
	v_mul_u32_u24_e32 v1, 0x254, v0
	s_mov_b32 s2, exec_lo
	v_mov_b32_e32 v27, 0
	s_delay_alu instid0(VALU_DEP_2) | instskip(NEXT) | instid1(VALU_DEP_1)
	v_lshrrev_b32_e32 v1, 16, v1
	v_add_nc_u32_e32 v26, ttmp9, v1
	s_wait_kmcnt 0x0
	s_delay_alu instid0(VALU_DEP_1)
	v_cmpx_gt_u64_e64 s[12:13], v[26:27]
	s_cbranch_execz .LBB0_23
; %bb.1:
	s_clause 0x1
	s_load_b128 s[4:7], s[0:1], 0x18
	s_load_b64 s[12:13], s[0:1], 0x0
	v_mul_lo_u16 v1, 0x6e, v1
	s_delay_alu instid0(VALU_DEP_1) | instskip(NEXT) | instid1(VALU_DEP_1)
	v_sub_nc_u16 v7, v0, v1
	v_and_b32_e32 v73, 0xffff, v7
	s_delay_alu instid0(VALU_DEP_1)
	v_lshlrev_b32_e32 v57, 2, v73
	s_wait_kmcnt 0x0
	s_load_b128 s[8:11], s[4:5], 0x0
	s_clause 0xa
	global_load_b32 v78, v57, s[12:13]
	global_load_b32 v76, v57, s[12:13] offset:600
	global_load_b32 v74, v57, s[12:13] offset:1200
	;; [unrolled: 1-line block ×10, first 2 shown]
	s_wait_kmcnt 0x0
	v_mad_co_u64_u32 v[0:1], null, s10, v26, 0
	v_mad_co_u64_u32 v[2:3], null, s8, v73, 0
	s_mul_u64 s[2:3], s[8:9], 0x96
	s_delay_alu instid0(VALU_DEP_1) | instskip(NEXT) | instid1(VALU_DEP_2)
	v_mad_co_u64_u32 v[4:5], null, s11, v26, v[1:2]
	v_mov_b32_e32 v1, v3
	s_delay_alu instid0(VALU_DEP_1) | instskip(NEXT) | instid1(VALU_DEP_3)
	v_mad_co_u64_u32 v[5:6], null, s9, v73, v[1:2]
	v_mov_b32_e32 v1, v4
	s_delay_alu instid0(VALU_DEP_1) | instskip(NEXT) | instid1(VALU_DEP_3)
	v_lshlrev_b64_e32 v[0:1], 2, v[0:1]
	v_mov_b32_e32 v3, v5
	s_delay_alu instid0(VALU_DEP_1) | instskip(NEXT) | instid1(VALU_DEP_3)
	v_lshlrev_b64_e32 v[2:3], 2, v[2:3]
	v_add_co_u32 v0, vcc_lo, s14, v0
	s_delay_alu instid0(VALU_DEP_4) | instskip(SKIP_1) | instid1(VALU_DEP_2)
	v_add_co_ci_u32_e32 v1, vcc_lo, s15, v1, vcc_lo
	s_lshl_b64 s[14:15], s[2:3], 2
	v_add_co_u32 v0, vcc_lo, v0, v2
	s_wait_alu 0xfffd
	s_delay_alu instid0(VALU_DEP_2)
	v_add_co_ci_u32_e32 v1, vcc_lo, v1, v3, vcc_lo
	v_add_co_u32 v24, s2, s12, v57
	s_wait_alu 0xfffe
	v_add_co_u32 v2, vcc_lo, v0, s14
	s_wait_alu 0xfffd
	v_add_co_ci_u32_e32 v3, vcc_lo, s15, v1, vcc_lo
	global_load_b32 v4, v[0:1], off
	v_add_co_ci_u32_e64 v25, null, s13, 0, s2
	global_load_b32 v5, v[2:3], off
	v_add_co_u32 v0, vcc_lo, v2, s14
	s_wait_alu 0xfffd
	v_add_co_ci_u32_e32 v1, vcc_lo, s15, v3, vcc_lo
	s_delay_alu instid0(VALU_DEP_2) | instskip(SKIP_1) | instid1(VALU_DEP_2)
	v_add_co_u32 v2, vcc_lo, v0, s14
	s_wait_alu 0xfffd
	v_add_co_ci_u32_e32 v3, vcc_lo, s15, v1, vcc_lo
	s_clause 0x1
	global_load_b32 v6, v[0:1], off
	global_load_b32 v8, v[2:3], off
	v_add_co_u32 v0, vcc_lo, v2, s14
	s_wait_alu 0xfffd
	v_add_co_ci_u32_e32 v1, vcc_lo, s15, v3, vcc_lo
	s_delay_alu instid0(VALU_DEP_2) | instskip(SKIP_1) | instid1(VALU_DEP_2)
	v_add_co_u32 v2, vcc_lo, v0, s14
	s_wait_alu 0xfffd
	v_add_co_ci_u32_e32 v3, vcc_lo, s15, v1, vcc_lo
	global_load_b32 v9, v[0:1], off
	global_load_b32 v10, v[2:3], off
	v_add_co_u32 v0, vcc_lo, v2, s14
	s_wait_alu 0xfffd
	v_add_co_ci_u32_e32 v1, vcc_lo, s15, v3, vcc_lo
	s_delay_alu instid0(VALU_DEP_2) | instskip(SKIP_1) | instid1(VALU_DEP_2)
	v_add_co_u32 v2, vcc_lo, v0, s14
	s_wait_alu 0xfffd
	v_add_co_ci_u32_e32 v3, vcc_lo, s15, v1, vcc_lo
	global_load_b32 v11, v[0:1], off
	v_add_co_u32 v0, vcc_lo, v2, s14
	s_wait_alu 0xfffd
	v_add_co_ci_u32_e32 v1, vcc_lo, s15, v3, vcc_lo
	global_load_b32 v12, v[2:3], off
	;; [unrolled: 4-line block ×4, first 2 shown]
	global_load_b32 v15, v[0:1], off
	s_load_b64 s[10:11], s[0:1], 0x38
	s_load_b128 s[4:7], s[6:7], 0x0
	v_add_nc_u32_e32 v2, 0x400, v57
	v_add_nc_u32_e32 v3, 0x800, v57
	v_cmp_gt_u16_e32 vcc_lo, 40, v7
	s_wait_loadcnt 0x15
	v_lshrrev_b32_e32 v80, 16, v78
	s_wait_loadcnt 0x14
	v_lshrrev_b32_e32 v79, 16, v76
	;; [unrolled: 2-line block ×12, first 2 shown]
	v_mul_f16_e32 v17, v80, v4
	s_wait_loadcnt 0x9
	v_lshrrev_b32_e32 v19, 16, v5
	v_mul_f16_e32 v20, v79, v5
	v_mul_f16_e32 v18, v80, v16
	v_fma_f16 v16, v78, v16, -v17
	s_delay_alu instid0(VALU_DEP_2)
	v_fmac_f16_e32 v18, v78, v4
	v_mul_f16_e32 v4, v79, v19
	v_fma_f16 v19, v76, v19, -v20
	s_wait_loadcnt 0x8
	v_lshrrev_b32_e32 v17, 16, v6
	v_mul_f16_e32 v20, v77, v6
	v_pack_b32_f16 v16, v18, v16
	v_fmac_f16_e32 v4, v76, v5
	s_wait_loadcnt 0x7
	v_lshrrev_b32_e32 v18, 16, v8
	v_mul_f16_e32 v5, v77, v17
	v_mul_f16_e32 v21, v75, v8
	v_fma_f16 v17, v74, v17, -v20
	v_pack_b32_f16 v4, v4, v19
	s_delay_alu instid0(VALU_DEP_4)
	v_fmac_f16_e32 v5, v74, v6
	v_mul_f16_e32 v6, v75, v18
	s_wait_loadcnt 0x6
	v_lshrrev_b32_e32 v19, 16, v9
	v_fma_f16 v18, v71, v18, -v21
	v_mul_f16_e32 v20, v72, v9
	ds_store_2addr_b32 v57, v16, v4 offset1:150
	v_pack_b32_f16 v4, v5, v17
	v_fmac_f16_e32 v6, v71, v8
	v_mul_f16_e32 v5, v72, v19
	s_wait_loadcnt 0x5
	v_lshrrev_b32_e32 v8, 16, v10
	v_mul_f16_e32 v16, v70, v10
	v_fma_f16 v17, v69, v19, -v20
	v_pack_b32_f16 v6, v6, v18
	v_fmac_f16_e32 v5, v69, v9
	v_mul_f16_e32 v9, v70, v8
	v_fma_f16 v8, v68, v8, -v16
	s_wait_loadcnt 0x4
	v_lshrrev_b32_e32 v16, 16, v11
	v_mul_f16_e32 v18, v67, v11
	ds_store_2addr_b32 v2, v4, v6 offset0:44 offset1:194
	v_pack_b32_f16 v6, v5, v17
	v_fmac_f16_e32 v9, v68, v10
	v_mul_f16_e32 v4, v67, v16
	s_wait_loadcnt 0x3
	v_lshrrev_b32_e32 v5, 16, v12
	v_fma_f16 v10, v66, v16, -v18
	v_mul_f16_e32 v16, v65, v12
	v_pack_b32_f16 v8, v9, v8
	v_fmac_f16_e32 v4, v66, v11
	v_mul_f16_e32 v9, v65, v5
	s_wait_loadcnt 0x2
	v_lshrrev_b32_e32 v11, 16, v13
	v_fma_f16 v5, v64, v5, -v16
	v_mul_f16_e32 v16, v63, v13
	v_pack_b32_f16 v10, v4, v10
	v_fmac_f16_e32 v9, v64, v12
	s_wait_loadcnt 0x1
	v_lshrrev_b32_e32 v4, 16, v14
	s_wait_loadcnt 0x0
	v_lshrrev_b32_e32 v17, 16, v15
	v_mul_f16_e32 v12, v63, v11
	v_fma_f16 v11, v62, v11, -v16
	v_mul_f16_e32 v16, v61, v14
	v_pack_b32_f16 v9, v9, v5
	v_mul_f16_e32 v5, v61, v4
	v_mul_f16_e32 v18, v60, v17
	;; [unrolled: 1-line block ×3, first 2 shown]
	v_fmac_f16_e32 v12, v62, v13
	v_fma_f16 v13, v59, v4, -v16
	v_fmac_f16_e32 v5, v59, v14
	v_fmac_f16_e32 v18, v58, v15
	v_fma_f16 v14, v58, v17, -v19
	v_add_nc_u32_e32 v4, 0xe00, v57
	v_pack_b32_f16 v11, v12, v11
	v_pack_b32_f16 v12, v5, v13
	v_add_nc_u32_e32 v5, 0x1200, v57
	v_pack_b32_f16 v13, v18, v14
	ds_store_2addr_b32 v3, v6, v8 offset0:88 offset1:238
	ds_store_2addr_b32 v4, v10, v9 offset0:4 offset1:154
	;; [unrolled: 1-line block ×3, first 2 shown]
	ds_store_b32 v57, v13 offset:6000
	s_and_saveexec_b32 s3, vcc_lo
	s_cbranch_execz .LBB0_3
; %bb.2:
	v_mad_co_u64_u32 v[0:1], null, 0xffffea48, s8, v[0:1]
	s_mul_i32 s2, s9, 0xffffea48
	v_add_nc_u32_e32 v31, 0xa00, v57
	s_wait_alu 0xfffe
	s_sub_co_i32 s2, s2, s8
	s_wait_alu 0xfffe
	s_delay_alu instid0(VALU_DEP_2)
	v_add_nc_u32_e32 v1, s2, v1
	global_load_b32 v8, v[0:1], off
	v_add_co_u32 v0, s2, v0, s14
	s_wait_alu 0xf1ff
	v_add_co_ci_u32_e64 v1, s2, s15, v1, s2
	s_clause 0x6
	global_load_b32 v9, v[24:25], off offset:440
	global_load_b32 v10, v[24:25], off offset:1040
	;; [unrolled: 1-line block ×7, first 2 shown]
	v_add_co_u32 v6, s2, v0, s14
	s_wait_alu 0xf1ff
	v_add_co_ci_u32_e64 v7, s2, s15, v1, s2
	s_clause 0x2
	global_load_b32 v16, v[24:25], off offset:4640
	global_load_b32 v17, v[24:25], off offset:5240
	;; [unrolled: 1-line block ×3, first 2 shown]
	global_load_b32 v19, v[0:1], off
	global_load_b32 v20, v[24:25], off offset:6440
	global_load_b32 v21, v[6:7], off
	v_add_co_u32 v0, s2, v6, s14
	s_wait_alu 0xf1ff
	v_add_co_ci_u32_e64 v1, s2, s15, v7, s2
	s_delay_alu instid0(VALU_DEP_2) | instskip(SKIP_1) | instid1(VALU_DEP_2)
	v_add_co_u32 v6, s2, v0, s14
	s_wait_alu 0xf1ff
	v_add_co_ci_u32_e64 v7, s2, s15, v1, s2
	global_load_b32 v22, v[0:1], off
	v_add_co_u32 v0, s2, v6, s14
	s_wait_alu 0xf1ff
	v_add_co_ci_u32_e64 v1, s2, s15, v7, s2
	global_load_b32 v23, v[6:7], off
	global_load_b32 v27, v[0:1], off
	v_add_co_u32 v0, s2, v0, s14
	s_wait_alu 0xf1ff
	v_add_co_ci_u32_e64 v1, s2, s15, v1, s2
	s_delay_alu instid0(VALU_DEP_2) | instskip(SKIP_1) | instid1(VALU_DEP_2)
	v_add_co_u32 v6, s2, v0, s14
	s_wait_alu 0xf1ff
	v_add_co_ci_u32_e64 v7, s2, s15, v1, s2
	global_load_b32 v28, v[0:1], off
	v_add_co_u32 v0, s2, v6, s14
	s_wait_alu 0xf1ff
	v_add_co_ci_u32_e64 v1, s2, s15, v7, s2
	global_load_b32 v29, v[6:7], off
	;; [unrolled: 4-line block ×4, first 2 shown]
	global_load_b32 v0, v[0:1], off
	v_add_nc_u32_e32 v1, 0x100, v57
	v_add_nc_u32_e32 v7, 0x600, v57
	s_wait_loadcnt 0x14
	v_lshrrev_b32_e32 v32, 16, v9
	v_lshrrev_b32_e32 v39, 16, v8
	s_wait_loadcnt 0x13
	v_lshrrev_b32_e32 v33, 16, v10
	s_wait_loadcnt 0x12
	;; [unrolled: 2-line block ×3, first 2 shown]
	v_lshrrev_b32_e32 v35, 16, v12
	v_mul_f16_e32 v43, v32, v8
	v_mul_f16_e32 v32, v32, v39
	s_wait_loadcnt 0x10
	v_lshrrev_b32_e32 v36, 16, v13
	s_wait_loadcnt 0xf
	v_lshrrev_b32_e32 v37, 16, v14
	s_wait_loadcnt 0xa
	v_lshrrev_b32_e32 v44, 16, v19
	v_mul_f16_e32 v46, v33, v19
	v_fma_f16 v39, v9, v39, -v43
	v_fmac_f16_e32 v32, v9, v8
	s_wait_loadcnt 0x8
	v_lshrrev_b32_e32 v9, 16, v21
	v_mul_f16_e32 v8, v33, v44
	v_fma_f16 v33, v10, v44, -v46
	v_mul_f16_e32 v43, v34, v21
	v_pack_b32_f16 v32, v32, v39
	v_lshrrev_b32_e32 v38, 16, v15
	v_fmac_f16_e32 v8, v10, v19
	v_mul_f16_e32 v10, v34, v9
	s_wait_loadcnt 0x7
	v_lshrrev_b32_e32 v19, 16, v22
	v_fma_f16 v9, v11, v9, -v43
	v_mul_f16_e32 v34, v35, v22
	v_pack_b32_f16 v8, v8, v33
	v_fmac_f16_e32 v10, v11, v21
	v_mul_f16_e32 v11, v35, v19
	s_wait_loadcnt 0x6
	v_lshrrev_b32_e32 v21, 16, v23
	v_mul_f16_e32 v33, v36, v23
	ds_store_2addr_b32 v1, v32, v8 offset0:46 offset1:196
	v_pack_b32_f16 v1, v10, v9
	s_wait_loadcnt 0x5
	v_lshrrev_b32_e32 v9, 16, v27
	v_mul_f16_e32 v8, v36, v21
	v_fma_f16 v19, v12, v19, -v34
	v_fmac_f16_e32 v11, v12, v22
	v_fma_f16 v10, v13, v21, -v33
	v_mul_f16_e32 v12, v37, v27
	v_fmac_f16_e32 v8, v13, v23
	v_mul_f16_e32 v13, v37, v9
	v_lshrrev_b32_e32 v40, 16, v16
	v_pack_b32_f16 v11, v11, v19
	s_wait_loadcnt 0x4
	v_lshrrev_b32_e32 v19, 16, v28
	v_fma_f16 v9, v14, v9, -v12
	v_mul_f16_e32 v12, v38, v28
	v_fmac_f16_e32 v13, v14, v27
	s_wait_loadcnt 0x3
	v_lshrrev_b32_e32 v14, 16, v29
	v_lshrrev_b32_e32 v41, 16, v17
	v_pack_b32_f16 v8, v8, v10
	v_mul_f16_e32 v10, v38, v19
	v_fma_f16 v12, v15, v19, -v12
	v_mul_f16_e32 v19, v40, v29
	v_pack_b32_f16 v9, v13, v9
	v_mul_f16_e32 v13, v40, v14
	v_lshrrev_b32_e32 v42, 16, v18
	v_fmac_f16_e32 v10, v15, v28
	s_wait_loadcnt 0x2
	v_lshrrev_b32_e32 v15, 16, v30
	v_fma_f16 v14, v16, v14, -v19
	v_mul_f16_e32 v19, v41, v30
	v_fmac_f16_e32 v13, v16, v29
	s_wait_loadcnt 0x1
	v_lshrrev_b32_e32 v16, 16, v6
	v_lshrrev_b32_e32 v45, 16, v20
	s_wait_loadcnt 0x0
	v_lshrrev_b32_e32 v21, 16, v0
	v_pack_b32_f16 v10, v10, v12
	v_mul_f16_e32 v12, v41, v15
	v_fma_f16 v15, v17, v15, -v19
	v_mul_f16_e32 v19, v42, v6
	v_pack_b32_f16 v13, v13, v14
	v_mul_f16_e32 v14, v42, v16
	v_mul_f16_e32 v22, v45, v21
	v_mul_f16_e32 v23, v45, v0
	v_fmac_f16_e32 v12, v17, v30
	v_fma_f16 v16, v18, v16, -v19
	v_fmac_f16_e32 v14, v18, v6
	v_fmac_f16_e32 v22, v20, v0
	v_fma_f16 v0, v20, v21, -v23
	v_add_nc_u32_e32 v6, 0xf00, v57
	v_pack_b32_f16 v12, v12, v15
	v_pack_b32_f16 v14, v14, v16
	v_add_nc_u32_e32 v15, 0x1400, v57
	v_pack_b32_f16 v0, v22, v0
	ds_store_2addr_b32 v7, v1, v11 offset0:26 offset1:176
	ds_store_2addr_b32 v31, v8, v9 offset0:70 offset1:220
	;; [unrolled: 1-line block ×4, first 2 shown]
	ds_store_b32 v57, v0 offset:6440
.LBB0_3:
	s_wait_alu 0xfffe
	s_or_b32 exec_lo, exec_lo, s3
	global_wb scope:SCOPE_SE
	s_wait_dscnt 0x0
	s_wait_kmcnt 0x0
	s_barrier_signal -1
	s_barrier_wait -1
	global_inv scope:SCOPE_SE
	ds_load_2addr_b32 v[10:11], v57 offset1:150
	ds_load_2addr_b32 v[16:17], v2 offset0:44 offset1:194
	ds_load_2addr_b32 v[12:13], v3 offset0:88 offset1:238
	;; [unrolled: 1-line block ×4, first 2 shown]
	ds_load_b32 v98, v57 offset:6000
	v_mov_b32_e32 v2, 0
                                        ; implicit-def: $vgpr4
                                        ; implicit-def: $vgpr7
                                        ; implicit-def: $vgpr0
                                        ; implicit-def: $vgpr9
                                        ; implicit-def: $vgpr29
	s_and_saveexec_b32 s2, vcc_lo
	s_cbranch_execz .LBB0_5
; %bb.4:
	v_add_nc_u32_e32 v0, 0x100, v57
	v_add_nc_u32_e32 v1, 0x600, v57
	;; [unrolled: 1-line block ×5, first 2 shown]
	ds_load_2addr_b32 v[2:3], v0 offset0:46 offset1:196
	ds_load_2addr_b32 v[8:9], v1 offset0:26 offset1:176
	ds_load_2addr_b32 v[6:7], v4 offset0:70 offset1:220
	ds_load_2addr_b32 v[4:5], v5 offset0:50 offset1:200
	ds_load_2addr_b32 v[0:1], v20 offset0:30 offset1:180
	ds_load_b32 v29, v57 offset:6440
.LBB0_5:
	s_wait_alu 0xfffe
	s_or_b32 exec_lo, exec_lo, s2
	s_wait_dscnt 0x0
	v_pk_add_f16 v20, v3, v29 neg_lo:[0,1] neg_hi:[0,1]
	v_pk_add_f16 v52, v8, v1 neg_lo:[0,1] neg_hi:[0,1]
	v_pk_add_f16 v33, v29, v3
	v_pk_add_f16 v92, v9, v0 neg_lo:[0,1] neg_hi:[0,1]
	v_pk_add_f16 v47, v0, v9
	v_lshrrev_b32_e32 v21, 16, v20
	v_lshrrev_b32_e32 v39, 16, v52
	;; [unrolled: 1-line block ×3, first 2 shown]
	v_mul_f16_e32 v32, 0xba0c, v20
	v_pk_add_f16 v43, v1, v8
	v_mul_f16_e32 v28, 0xbbeb, v21
	v_mul_f16_e32 v84, 0x3482, v39
	v_lshrrev_b32_e32 v48, 16, v47
	v_mul_f16_e32 v53, 0xb853, v92
	v_mul_f16_e32 v23, 0xbbeb, v20
	v_fma_f16 v51, v33, 0xb08e, -v28
	v_mul_f16_e32 v31, 0xb853, v21
	v_mul_f16_e32 v34, 0xbb47, v21
	;; [unrolled: 1-line block ×3, first 2 shown]
	v_fmamk_f16 v56, v36, 0xb93d, v32
	v_mul_f16_e32 v37, 0xb482, v20
	v_fma_f16 v81, v36, 0xb93d, -v32
	v_mul_f16_e32 v32, 0xbb47, v39
	v_mul_f16_e32 v38, 0xba0c, v39
	v_lshrrev_b32_e32 v44, 16, v43
	v_fma_f16 v88, v43, 0xbbad, -v84
	v_mul_f16_e32 v90, 0x3beb, v39
	v_mul_f16_e32 v39, 0x3beb, v52
	v_fmamk_f16 v111, v48, 0x3abb, v53
	v_fma_f16 v113, v48, 0x3abb, -v53
	v_lshrrev_b32_e32 v53, 16, v2
	v_add_f16_e32 v51, v51, v2
	v_mul_f16_e32 v35, 0xbb47, v20
	v_fmamk_f16 v30, v36, 0xb08e, v23
	v_fma_f16 v23, v36, 0xb08e, -v23
	v_fma_f16 v55, v33, 0xb93d, -v21
	v_fmamk_f16 v83, v36, 0xbbad, v37
	v_fma_f16 v82, v36, 0xbbad, -v37
	v_mul_f16_e32 v40, 0xba0c, v52
	v_mul_f16_e32 v37, 0x3482, v52
	;; [unrolled: 1-line block ×3, first 2 shown]
	v_lshrrev_b32_e32 v41, 16, v92
	v_fma_f16 v95, v44, 0xb08e, -v39
	v_add_f16_e32 v118, v88, v51
	v_pk_mul_f16 v88, 0x3853bb47, v52
	v_add_f16_e32 v52, v81, v53
	v_fma_f16 v27, v36, 0x36a6, -v35
	v_fmamk_f16 v49, v33, 0x36a6, v34
	v_fmac_f16_e32 v28, 0xb08e, v33
	v_fmac_f16_e32 v21, 0xb93d, v33
	v_fma_f16 v91, v44, 0xbbad, -v37
	v_fma_f16 v93, v43, 0xb08e, -v90
	;; [unrolled: 1-line block ×3, first 2 shown]
	v_pk_add_f16 v106, v6, v5 neg_lo:[0,1] neg_hi:[0,1]
	v_mul_f16_e32 v107, 0xb853, v41
	v_mul_f16_e32 v112, 0xba0c, v92
	v_add_f16_e32 v23, v23, v53
	v_add_f16_e32 v51, v55, v2
	v_pk_mul_f16 v55, 0xb482b853, v20
	v_add_f16_e32 v120, v95, v52
	v_add_f16_e32 v52, v82, v53
	v_fmamk_f16 v42, v33, 0x3abb, v31
	v_fmamk_f16 v86, v43, 0xb93d, v38
	v_fma_f16 v87, v44, 0xb93d, -v40
	v_fmamk_f16 v89, v44, 0xbbad, v37
	v_fmac_f16_e32 v84, 0xbbad, v43
	v_fmamk_f16 v94, v44, 0xb08e, v39
	v_fmac_f16_e32 v90, 0xb08e, v43
	v_mul_f16_e32 v39, 0x3482, v41
	v_mul_f16_e32 v97, 0x3b47, v41
	;; [unrolled: 1-line block ×3, first 2 shown]
	v_lshrrev_b32_e32 v109, 16, v106
	v_fma_f16 v110, v47, 0x3abb, -v107
	v_pk_add_f16 v50, v5, v6
	v_fma_f16 v115, v48, 0xb93d, -v112
	v_add_f16_e32 v117, v49, v2
	v_add_f16_e32 v27, v27, v53
	;; [unrolled: 1-line block ×6, first 2 shown]
	v_pk_fma_f16 v51, 0x3abbbbad, v33, v55 op_sel:[0,0,1] op_sel_hi:[1,1,0] neg_lo:[0,0,1] neg_hi:[0,0,1]
	v_add_f16_e32 v56, v56, v53
	v_add_f16_e32 v21, v21, v2
	v_pk_add_f16 v121, v7, v4 neg_lo:[0,1] neg_hi:[0,1]
	v_add_f16_e32 v96, v96, v52
	v_pk_add_f16 v93, v4, v7
	v_fmamk_f16 v85, v43, 0x36a6, v32
	v_mul_f16_e32 v37, 0xbbeb, v41
	v_fmamk_f16 v102, v47, 0xbbad, v39
	v_fma_f16 v104, v47, 0x36a6, -v97
	v_fmamk_f16 v105, v48, 0x36a6, v45
	v_fmac_f16_e32 v97, 0x36a6, v47
	v_fma_f16 v108, v48, 0x36a6, -v45
	v_mul_f16_e32 v45, 0x3beb, v109
	v_add_f16_e32 v42, v42, v2
	v_lshrrev_b32_e32 v54, 16, v50
	v_add_f16_e32 v86, v86, v117
	v_mul_f16_e32 v117, 0xb853, v109
	v_add_f16_e32 v27, v87, v27
	v_mul_f16_e32 v87, 0xb853, v106
	v_add_f16_e32 v30, v89, v30
	v_add_f16_e32 v28, v84, v28
	v_pk_add_f16 v51, v51, v2
	v_add_f16_e32 v56, v94, v56
	v_add_f16_e32 v21, v90, v21
	v_pk_fma_f16 v81, 0x36a63abb, v43, v88 op_sel:[0,0,1] op_sel_hi:[1,1,0] neg_lo:[0,0,1] neg_hi:[0,0,1]
	v_mul_f16_e32 v90, 0xb482, v106
	v_lshrrev_b32_e32 v122, 16, v121
	v_pk_mul_f16 v94, 0xba0cbbeb, v92
	v_add_f16_e32 v91, v110, v91
	v_lshrrev_b32_e32 v95, 16, v93
	v_add_f16_e32 v110, v115, v96
	v_mul_f16_e32 v96, 0xba0c, v121
	v_mul_f16_e32 v46, 0x3482, v92
	v_fmamk_f16 v101, v47, 0xb08e, v37
	v_mul_f16_e32 v41, 0xba0c, v109
	v_fmac_f16_e32 v107, 0x3abb, v47
	v_add_f16_e32 v42, v85, v42
	v_fmamk_f16 v85, v50, 0xb08e, v45
	v_fma_f16 v89, v50, 0x3abb, -v117
	v_fmamk_f16 v84, v54, 0x3abb, v87
	v_mul_f16_e32 v109, 0xb482, v109
	v_fma_f16 v20, v54, 0x3abb, -v87
	v_pk_add_f16 v81, v81, v51
	v_fmamk_f16 v82, v54, 0xbbad, v90
	v_add_f16_e32 v86, v102, v86
	v_add_f16_e32 v102, v104, v118
	;; [unrolled: 1-line block ×5, first 2 shown]
	v_mul_f16_e32 v52, 0x3853, v122
	v_add_f16_e32 v92, v111, v56
	v_pk_fma_f16 v30, 0xb08eb93d, v47, v94 op_sel:[0,0,1] op_sel_hi:[1,1,0] neg_lo:[0,0,1] neg_hi:[0,0,1]
	v_add_f16_e32 v97, v113, v120
	v_mul_f16_e32 v108, 0xba0c, v122
	v_fmamk_f16 v113, v95, 0xb93d, v96
	v_fma_f16 v115, v95, 0xb93d, -v96
	v_pk_mul_f16 v96, 0x3b47ba0c, v106
	v_pk_add_f16 v22, v10, v11
	v_mul_f16_e32 v100, 0x3abb, v44
	v_fmamk_f16 v116, v50, 0xb93d, v41
	v_mul_f16_e32 v49, 0x3beb, v106
	v_fmac_f16_e32 v117, 0x3abb, v50
	v_fma_f16 v87, v50, 0xbbad, -v109
	v_fmac_f16_e32 v109, 0xbbad, v50
	v_add_f16_e32 v42, v101, v42
	v_mul_f16_e32 v101, 0x3b47, v106
	v_mul_f16_e32 v51, 0xb482, v122
	v_add_f16_e32 v21, v107, v21
	v_fmamk_f16 v107, v93, 0x3abb, v52
	v_pk_add_f16 v81, v30, v81
	v_add_f16_e32 v85, v85, v86
	v_fma_f16 v86, v93, 0xb93d, -v108
	v_mul_f16_e32 v30, 0x3b47, v122
	v_add_f16_e32 v102, v89, v102
	v_add_f16_e32 v84, v84, v104
	;; [unrolled: 1-line block ×3, first 2 shown]
	v_pk_fma_f16 v106, 0x3abbbbad, v33, v55 op_sel:[0,0,1] op_sel_hi:[1,1,0]
	v_add_f16_e32 v122, v82, v92
	v_pk_fma_f16 v20, 0xb93d36a6, v50, v96 op_sel:[0,0,1] op_sel_hi:[1,1,0] neg_lo:[0,0,1] neg_hi:[0,0,1]
	v_pk_mul_f16 v92, 0x36a63abb, v43
	v_add_f16_e32 v42, v116, v42
	v_add_f16_e32 v116, v117, v28
	v_add_f16_e32 v120, v87, v91
	v_add_f16_e32 v87, v109, v21
	v_pk_add_f16 v123, v20, v81
	v_add_f16_e32 v28, v107, v85
	v_add_f16_e32 v20, v86, v102
	;; [unrolled: 1-line block ×3, first 2 shown]
	v_pack_b32_f16 v84, v99, v106
	v_perm_b32 v85, v2, v100, 0x5040100
	v_pack_b32_f16 v86, v83, v92
	v_perm_b32 v99, v88, v2, 0x7060302
	v_add_f16_e32 v83, v115, v23
	v_pk_add_f16 v23, v22, v16
	v_pk_add_f16 v85, v84, v85
	v_fma_f16 v103, v48, 0xbbad, -v46
	v_pk_add_f16 v86, v86, v99
	v_mul_f16_e32 v114, 0xb93d, v48
	v_pk_add_f16 v100, v23, v17
	v_fma_f16 v90, v54, 0xbbad, -v90
	v_pk_mul_f16 v91, 0xb08eb93d, v47
	v_pk_add_f16 v85, v86, v85
	v_fma_f16 v119, v54, 0xb08e, -v49
	v_pk_add_f16 v86, v100, v12
	v_add_f16_e32 v27, v103, v27
	v_mul_f16_e32 v103, 0x36a6, v54
	v_mul_f16_e32 v89, 0x3b47, v121
	v_add_f16_e32 v109, v90, v97
	v_pk_mul_f16 v90, 0xb93d36a6, v50
	v_pack_b32_f16 v99, v112, v91
	v_bfi_b32 v102, 0xffff, v114, v94
	v_pk_add_f16 v86, v86, v13
	v_fma_f16 v105, v54, 0x36a6, -v101
	v_add_f16_e32 v27, v119, v27
	v_fmamk_f16 v117, v95, 0x36a6, v89
	v_fma_f16 v119, v95, 0x36a6, -v89
	v_pk_mul_f16 v97, 0xbbebb482, v121
	v_pk_mul_f16 v89, 0xbbadb08e, v93
	v_pk_add_f16 v99, v99, v102
	v_pack_b32_f16 v100, v101, v90
	v_bfi_b32 v101, 0xffff, v103, v96
	v_mul_f16_e32 v102, 0xbbeb, v121
	v_mul_f16_e32 v103, 0xb08e, v95
	v_pk_add_f16 v86, v86, v14
	v_pk_add_f16 v85, v99, v85
	;; [unrolled: 1-line block ×3, first 2 shown]
	v_pack_b32_f16 v100, v102, v89
	v_bfi_b32 v103, 0xffff, v103, v97
	v_pk_add_f16 v86, v86, v15
	v_mul_f16_e32 v56, 0x3853, v121
	v_add_f16_e32 v105, v105, v110
	v_pk_add_f16 v101, v11, v98 neg_lo:[0,1] neg_hi:[0,1]
	v_pk_add_f16 v85, v99, v85
	v_pk_add_f16 v100, v100, v103
	;; [unrolled: 1-line block ×3, first 2 shown]
	v_fma_f16 v11, v95, 0xb08e, -v102
	v_pk_add_f16 v102, v86, v18
	v_fma_f16 v111, v95, 0x3abb, -v56
	v_fmac_f16_e32 v108, 0xb93d, v93
	v_fma_f16 v104, v93, 0x36a6, -v30
	v_lshrrev_b32_e32 v99, 16, v101
	v_pk_add_f16 v85, v100, v85
	v_pk_mul_f16 v100, 0x3abb36a6, v103
	v_add_f16_e32 v86, v11, v105
	v_pk_add_f16 v11, v102, v19
	v_pk_add_f16 v113, v19, v16
	v_pk_add_f16 v16, v16, v19 neg_lo:[0,1] neg_hi:[0,1]
	v_pk_add_f16 v19, v18, v17
	v_pk_add_f16 v17, v17, v18 neg_lo:[0,1] neg_hi:[0,1]
	v_pk_mul_f16 v18, 0xbbad, v103 op_sel_hi:[0,1]
	v_add_f16_e32 v82, v111, v27
	v_add_f16_e32 v27, v108, v116
	;; [unrolled: 1-line block ×3, first 2 shown]
	v_mul_f16_e32 v104, 0xb853, v99
	v_pk_fma_f16 v105, 0xbb47b853, v101, v100 op_sel:[0,0,1] op_sel_hi:[1,1,0] neg_lo:[0,1,0] neg_hi:[0,1,0]
	v_pk_fma_f16 v100, 0xbb47b853, v101, v100 op_sel:[0,0,1] op_sel_hi:[1,1,0]
	v_mul_f16_e32 v108, 0xbbeb, v99
	v_mul_f16_e32 v99, 0xba0c, v99
	v_pk_add_f16 v114, v15, v12
	v_pk_add_f16 v12, v12, v15 neg_lo:[0,1] neg_hi:[0,1]
	v_pk_add_f16 v15, v14, v13
	v_pk_add_f16 v13, v13, v14 neg_lo:[0,1] neg_hi:[0,1]
	v_pk_fma_f16 v14, 0xb482, v101, v18 op_sel:[0,0,1] op_sel_hi:[0,1,0] neg_lo:[0,1,0] neg_hi:[0,1,0]
	v_fmamk_f16 v118, v93, 0xbbad, v51
	v_add_f16_e32 v23, v117, v122
	v_add_f16_e32 v84, v119, v109
	v_fma_f16 v102, v103, 0x3abb, -v104
	v_fmac_f16_e32 v104, 0x3abb, v103
	v_bfi_b32 v107, 0xffff, v100, v105
	v_lshrrev_b32_e32 v109, 16, v103
	v_alignbit_b32 v100, s0, v100, 16
	v_fma_f16 v111, v103, 0xb08e, -v108
	v_fmac_f16_e32 v108, 0xb08e, v103
	v_fma_f16 v116, v103, 0xb93d, -v99
	v_fmac_f16_e32 v99, 0xb93d, v103
	v_alignbit_b32 v103, s0, v14, 16
	v_pk_fma_f16 v18, 0xb482, v101, v18 op_sel:[0,0,1] op_sel_hi:[0,1,0]
	v_lshrrev_b32_e32 v117, 16, v16
	v_add_f16_e32 v81, v118, v42
	v_pk_add_f16 v11, v11, v98
	v_add_f16_e32 v102, v10, v102
	v_add_f16_e32 v104, v10, v104
	v_lshrrev_b32_e32 v106, 16, v10
	v_alignbit_b32 v98, s0, v10, 16
	v_pk_add_f16 v107, v10, v107 op_sel:[1,0] op_sel_hi:[0,1]
	v_pk_add_f16 v100, v10, v100
	v_add_f16_e32 v111, v10, v111
	v_add_f16_e32 v108, v10, v108
	;; [unrolled: 1-line block ×4, first 2 shown]
	v_pk_add_f16 v103, v10, v103
	v_pk_mul_f16 v118, 0x36a6b93d, v113
	v_pk_add_f16 v10, v10, v18 op_sel:[1,0] op_sel_hi:[0,1]
	v_mul_f16_e32 v18, 0xbb47, v117
	v_pk_fma_f16 v42, 0xbbadb08e, v93, v97 op_sel:[0,0,1] op_sel_hi:[1,1,0] neg_lo:[0,0,1] neg_hi:[0,0,1]
	v_mul_f16_e32 v110, 0xbb47, v101
	v_mul_f16_e32 v115, 0xbbeb, v101
	;; [unrolled: 1-line block ×3, first 2 shown]
	v_pk_fma_f16 v120, 0xba0cbb47, v16, v118 op_sel:[0,0,1] op_sel_hi:[1,1,0] neg_lo:[0,1,0] neg_hi:[0,1,0]
	v_pk_fma_f16 v118, 0xba0cbb47, v16, v118 op_sel:[0,0,1] op_sel_hi:[1,1,0]
	v_fma_f16 v121, v113, 0x36a6, -v18
	v_pk_add_f16 v42, v42, v123
	v_fmamk_f16 v112, v109, 0x36a6, v110
	v_fma_f16 v110, v109, 0x36a6, -v110
	v_fmamk_f16 v119, v109, 0xb08e, v115
	v_fma_f16 v115, v109, 0xb08e, -v115
	;; [unrolled: 2-line block ×3, first 2 shown]
	v_fmac_f16_e32 v18, 0x36a6, v113
	v_bfi_b32 v109, 0xffff, v118, v120
	v_add_f16_e32 v102, v121, v102
	v_lshrrev_b32_e32 v121, 16, v113
	v_mul_f16_e32 v123, 0xba0c, v16
	v_add_f16_e32 v18, v18, v104
	v_pk_add_f16 v104, v109, v107
	v_add_f16_e32 v107, v106, v112
	v_mul_f16_e32 v109, 0x3482, v117
	v_fmamk_f16 v112, v121, 0xb93d, v123
	v_alignbit_b32 v118, s0, v118, 16
	v_add_f16_e32 v110, v106, v110
	v_fma_f16 v123, v121, 0xb93d, -v123
	v_fma_f16 v124, v113, 0xbbad, -v109
	v_add_f16_e32 v107, v112, v107
	v_mul_f16_e32 v112, 0x3482, v16
	v_mul_f16_e32 v117, 0x3beb, v117
	v_pk_add_f16 v100, v118, v100
	v_add_f16_e32 v110, v123, v110
	v_add_f16_e32 v111, v124, v111
	;; [unrolled: 1-line block ×3, first 2 shown]
	v_fmamk_f16 v119, v121, 0xbbad, v112
	v_fmac_f16_e32 v109, 0xbbad, v113
	v_mul_f16_e32 v123, 0x3beb, v16
	v_add_f16_e32 v115, v106, v115
	v_fma_f16 v112, v121, 0xbbad, -v112
	v_fma_f16 v124, v113, 0xb08e, -v117
	v_add_f16_e32 v122, v106, v122
	v_fmamk_f16 v125, v121, 0xb08e, v123
	v_add_f16_e32 v108, v109, v108
	v_add_f16_e32 v109, v112, v115
	;; [unrolled: 1-line block ×3, first 2 shown]
	v_lshrrev_b32_e32 v116, 16, v17
	v_add_f16_e32 v118, v119, v118
	v_add_f16_e32 v115, v125, v122
	v_pk_mul_f16 v119, 0xb08ebbad, v19
	v_fmac_f16_e32 v117, 0xb08e, v113
	v_mul_f16_e32 v122, 0xbbeb, v116
	v_fma_f16 v121, v121, 0xb08e, -v123
	v_add_f16_e32 v101, v106, v101
	v_pk_fma_f16 v123, 0x3482bbeb, v17, v119 op_sel:[0,0,1] op_sel_hi:[1,1,0] neg_lo:[0,1,0] neg_hi:[0,1,0]
	v_pk_fma_f16 v119, 0x3482bbeb, v17, v119 op_sel:[0,0,1] op_sel_hi:[1,1,0]
	v_add_f16_e32 v99, v117, v99
	v_fma_f16 v117, v19, 0xb08e, -v122
	v_fmac_f16_e32 v122, 0xb08e, v19
	v_add_f16_e32 v101, v121, v101
	v_bfi_b32 v121, 0xffff, v119, v123
	v_lshrrev_b32_e32 v124, 16, v19
	v_mul_f16_e32 v125, 0x3482, v17
	v_add_f16_e32 v102, v117, v102
	v_add_f16_e32 v18, v122, v18
	v_mul_f16_e32 v117, 0x3b47, v116
	v_alignbit_b32 v119, s0, v119, 16
	v_mul_f16_e32 v122, 0x3b47, v17
	v_pk_add_f16 v104, v121, v104
	v_fmamk_f16 v121, v124, 0xbbad, v125
	v_fma_f16 v126, v19, 0x36a6, -v117
	v_pk_add_f16 v100, v119, v100
	v_fmamk_f16 v119, v124, 0x36a6, v122
	v_mul_f16_e32 v116, 0xb853, v116
	v_fmac_f16_e32 v117, 0x36a6, v19
	v_fma_f16 v125, v124, 0xbbad, -v125
	v_add_f16_e32 v107, v121, v107
	v_add_f16_e32 v118, v119, v118
	v_fma_f16 v119, v124, 0x36a6, -v122
	v_mul_f16_e32 v121, 0xb853, v17
	v_fma_f16 v122, v19, 0x3abb, -v116
	v_add_f16_e32 v108, v117, v108
	v_lshrrev_b32_e32 v117, 16, v12
	v_add_f16_e32 v110, v125, v110
	v_add_f16_e32 v109, v119, v109
	v_fmamk_f16 v119, v124, 0x3abb, v121
	v_add_f16_e32 v112, v122, v112
	v_fmac_f16_e32 v116, 0x3abb, v19
	v_mul_f16_e32 v122, 0xba0c, v117
	v_pk_mul_f16 v125, 0xb93db08e, v114
	v_add_f16_e32 v111, v126, v111
	v_add_f16_e32 v115, v119, v115
	v_fma_f16 v119, v124, 0x3abb, -v121
	v_add_f16_e32 v99, v116, v99
	v_fma_f16 v116, v114, 0xb93d, -v122
	v_pk_fma_f16 v121, 0x3bebba0c, v12, v125 op_sel:[0,0,1] op_sel_hi:[1,1,0] neg_lo:[0,1,0] neg_hi:[0,1,0]
	v_pk_fma_f16 v124, 0x3bebba0c, v12, v125 op_sel:[0,0,1] op_sel_hi:[1,1,0]
	v_lshrrev_b32_e32 v125, 16, v114
	v_mul_f16_e32 v126, 0x3beb, v12
	v_fmac_f16_e32 v122, 0xb93d, v114
	v_add_f16_e32 v101, v119, v101
	v_add_f16_e32 v105, v106, v105
	;; [unrolled: 1-line block ×3, first 2 shown]
	v_fmamk_f16 v119, v125, 0xb08e, v126
	v_add_f16_e32 v18, v122, v18
	v_fma_f16 v122, v125, 0xb08e, -v126
	v_mul_f16_e32 v126, 0xb853, v117
	v_mul_f16_e32 v117, 0xb482, v117
	v_add_f16_e32 v107, v119, v107
	v_bfi_b32 v116, 0xffff, v124, v121
	v_add_f16_e32 v110, v122, v110
	v_fma_f16 v119, v114, 0x3abb, -v126
	v_mul_f16_e32 v122, 0xb482, v12
	v_add_f16_e32 v105, v120, v105
	v_pk_add_f16 v104, v116, v104
	v_mul_f16_e32 v116, 0xb853, v12
	v_add_f16_e32 v111, v119, v111
	v_fma_f16 v119, v114, 0xbbad, -v117
	v_fma_f16 v128, 0xbbad, v125, v122
	v_fmac_f16_e32 v117, 0xbbad, v114
	v_add_f16_e32 v105, v123, v105
	v_fmamk_f16 v127, v125, 0x3abb, v116
	v_add_f16_e32 v106, v119, v112
	v_add_f16_e64 v112, v128, v115
	v_lshrrev_b32_e32 v115, 16, v13
	v_fma_f16 v119, v125, 0xbbad, -v122
	v_add_f16_e32 v99, v117, v99
	v_pk_mul_f16 v117, 0xbbad3abb, v15
	v_fma_f16 v116, v125, 0x3abb, -v116
	v_mul_f16_e32 v120, 0xb482, v115
	v_add_f16_e32 v101, v119, v101
	v_add_f16_e32 v105, v121, v105
	v_pk_fma_f16 v121, 0x3853b482, v13, v117 op_sel:[0,0,1] op_sel_hi:[1,1,0] neg_lo:[0,1,0] neg_hi:[0,1,0]
	v_pk_fma_f16 v122, 0x3853b482, v13, v117 op_sel:[0,0,1] op_sel_hi:[1,1,0]
	v_fma_f16 v119, v15, 0xbbad, -v120
	v_fmac_f16_e32 v120, 0xbbad, v15
	v_lshrrev_b32_e32 v123, 16, v15
	v_mul_f16_e32 v125, 0x3853, v13
	v_add_f16_e32 v118, v127, v118
	v_add_f16_e32 v102, v119, v102
	;; [unrolled: 1-line block ×3, first 2 shown]
	v_bfi_b32 v119, 0xffff, v122, v121
	v_add_f16_e32 v120, v121, v105
	v_fmamk_f16 v105, v123, 0x3abb, v125
	v_fma_f16 v121, v123, 0x3abb, -v125
	v_mul_f16_e32 v122, 0xba0c, v115
	v_mul_f16_e32 v125, 0xb93d, v123
	v_pk_add_f16 v104, v119, v104
	v_add_f16_e32 v105, v105, v107
	v_add_f16_e32 v107, v121, v110
	v_fma_f16 v110, v15, 0xb93d, -v122
	v_fmamk_f16 v119, v13, 0xba0c, v125
	v_mul_f16_e32 v115, 0x3b47, v115
	v_pk_mul_f16 v113, 0x3abb, v113 op_sel_hi:[0,1]
	v_pack_b32_f16 v102, v102, v104
	v_add_f16_e32 v110, v110, v111
	v_add_f16_e32 v111, v119, v118
	v_fma_f16 v118, v15, 0x36a6, -v115
	v_fmac_f16_e32 v115, 0x36a6, v15
	v_pk_mul_f16 v19, 0xb93d, v19 op_sel_hi:[0,1]
	v_fmac_f16_e32 v30, 0x36a6, v93
	v_pk_add_f16 v14, v98, v14
	v_add_f16_e32 v106, v118, v106
	v_pk_fma_f16 v118, 0x3853, v16, v113 op_sel:[0,0,1] op_sel_hi:[0,1,0] neg_lo:[0,1,0] neg_hi:[0,1,0]
	v_add_f16_e32 v99, v115, v99
	v_alignbit_b32 v115, v105, v104, 16
	v_pk_fma_f16 v16, 0x3853, v16, v113 op_sel:[0,0,1] op_sel_hi:[0,1,0]
	v_add_f16_e32 v30, v30, v87
	v_alignbit_b32 v104, s0, v118, 16
	v_pk_mul_f16 v87, 0x36a6, v114 op_sel_hi:[0,1]
	v_pk_add_f16 v14, v118, v14
	v_pk_add_f16 v10, v16, v10
	s_load_b64 s[2:3], s[0:1], 0x8
	v_pk_add_f16 v98, v104, v103
	v_pk_fma_f16 v103, 0xba0c, v17, v19 op_sel:[0,0,1] op_sel_hi:[0,1,0] neg_lo:[0,1,0] neg_hi:[0,1,0]
	v_pk_fma_f16 v17, 0xba0c, v17, v19 op_sel:[0,0,1] op_sel_hi:[0,1,0]
	v_pk_fma_f16 v19, 0x3b47, v12, v87 op_sel:[0,0,1] op_sel_hi:[0,1,0] neg_lo:[0,1,0] neg_hi:[0,1,0]
	v_pk_fma_f16 v12, 0x3b47, v12, v87 op_sel:[0,0,1] op_sel_hi:[0,1,0]
	v_fmac_f16_e32 v122, 0xb93d, v15
	v_alignbit_b32 v104, s0, v103, 16
	v_pk_add_f16 v10, v17, v10
	v_add_co_u32 v16, s0, 0x6e, v73
	s_wait_alu 0xf1ff
	v_alignbit_b32 v17, s0, v19, 16
	v_pk_add_f16 v98, v104, v98
	v_pk_mul_f16 v15, 0xb08e, v15 op_sel_hi:[0,1]
	v_mul_f16_e32 v121, 0x3b47, v13
	v_pk_mul_f16 v87, 0x3853b482, v13
	v_pk_add_f16 v14, v103, v14
	v_mul_f16_e32 v103, 0xba0c, v13
	v_pk_add_f16 v10, v12, v10
	v_lshlrev_b32_e32 v12, 16, v100
	v_pk_add_f16 v17, v17, v98
	v_pk_fma_f16 v98, 0xbbeb, v13, v15 op_sel:[0,0,1] op_sel_hi:[0,1,0] neg_lo:[0,1,0] neg_hi:[0,1,0]
	v_fmac_f16_e32 v126, 0x3abb, v114
	v_fmamk_f16 v119, v123, 0x36a6, v121
	v_fma_f16 v121, v123, 0x36a6, -v121
	v_mul_lo_u16 v104, v73, 11
	v_pack_b32_f16 v100, v116, v117
	v_bfi_b32 v87, 0xffff, v109, v87
	v_pk_add_f16 v103, v125, v103 neg_lo:[0,1] neg_hi:[0,1]
	v_pk_add_f16 v12, v124, v12
	v_pk_fma_f16 v13, 0xbbeb, v13, v15 op_sel:[0,0,1] op_sel_hi:[0,1,0]
	v_pk_add_f16 v14, v19, v14
	v_alignbit_b32 v15, s0, v98, 16
	v_add_f16_e32 v108, v126, v108
	v_add_f16_e32 v101, v121, v101
	v_and_b32_e32 v104, 0xffff, v104
	v_pk_add_f16 v19, v100, v87
	v_bfi_b32 v12, 0xffff, v103, v12
	v_add_f16_e32 v112, v119, v112
	v_add_co_ci_u32_e64 v105, null, 0, 0, s0
	v_pk_add_f16 v10, v13, v10
	v_pk_add_f16 v13, v98, v14
	;; [unrolled: 1-line block ×3, first 2 shown]
	v_add_f16_e32 v108, v122, v108
	v_lshlrev_b32_e32 v105, 2, v104
	v_pack_b32_f16 v15, v99, v101
	v_pk_add_f16 v12, v12, v19
	v_mul_u32_u24_e32 v87, 11, v16
	v_pack_b32_f16 v106, v106, v112
	v_pack_b32_f16 v17, v110, v111
	v_alignbit_b32 v13, v13, v10, 16
	v_pack_b32_f16 v10, v14, v10
	global_wb scope:SCOPE_SE
	s_wait_kmcnt 0x0
	s_barrier_signal -1
	s_barrier_wait -1
	global_inv scope:SCOPE_SE
	ds_store_2addr_b32 v105, v11, v15 offset1:7
	v_alignbit_b32 v11, v107, v12, 16
	v_pack_b32_f16 v12, v108, v12
	v_pack_b32_f16 v14, v18, v120
	ds_store_2addr_b32 v105, v102, v115 offset0:1 offset1:2
	ds_store_2addr_b32 v105, v17, v106 offset0:3 offset1:4
	;; [unrolled: 1-line block ×4, first 2 shown]
	ds_store_b32 v105, v14 offset:40
	s_and_saveexec_b32 s0, vcc_lo
	s_cbranch_execz .LBB0_7
; %bb.6:
	v_pk_add_f16 v3, v3, v2
	v_mul_f16_e32 v10, 0x3abb, v33
	v_mul_f16_e32 v11, 0x36a6, v33
	v_pk_mul_f16 v33, 0x3abbbbad, v33
	v_mul_f16_e32 v12, 0x36a6, v36
	v_pk_add_f16 v3, v8, v3
	v_mul_f16_e32 v13, 0x36a6, v43
	v_mul_f16_e32 v14, 0xb93d, v43
	;; [unrolled: 1-line block ×5, first 2 shown]
	v_alignbit_b32 v50, v55, v55, 16
	v_bfi_b32 v8, 0xffff, v31, v33
	v_pk_add_f16 v3, v9, v3
	v_add_f16_e32 v15, v40, v15
	v_alignbit_b32 v40, v88, v88, 16
	v_pk_add_f16 v9, v50, v33
	v_pk_add_f16 v8, v10, v8 neg_lo:[0,1] neg_hi:[0,1]
	v_bfi_b32 v10, 0xffff, v32, v92
	v_pk_add_f16 v3, v6, v3
	v_add_f16_e32 v12, v35, v12
	v_sub_f16_e32 v11, v11, v34
	v_mul_f16_e32 v17, 0xb08e, v47
	v_alignbit_b32 v34, v94, v94, 16
	v_bfi_b32 v6, 0xffff, v37, v91
	v_bfi_b32 v8, 0xffff, v8, v9
	v_pk_add_f16 v9, v13, v10 neg_lo:[0,1] neg_hi:[0,1]
	v_pk_add_f16 v10, v40, v92
	v_pk_add_f16 v3, v7, v3
	v_mul_f16_e32 v18, 0xbbad, v47
	v_mul_f16_e32 v19, 0xbbad, v48
	v_add_f16_e32 v12, v12, v53
	v_add_f16_e32 v11, v11, v2
	v_sub_f16_e32 v14, v14, v38
	v_alignbit_b32 v53, v96, v96, 16
	v_pk_add_f16 v6, v17, v6 neg_lo:[0,1] neg_hi:[0,1]
	v_pk_add_f16 v7, v34, v91
	v_bfi_b32 v13, 0xffff, v41, v90
	v_bfi_b32 v9, 0xffff, v9, v10
	v_pk_add_f16 v3, v4, v3
	v_pk_add_f16 v2, v8, v2
	v_mul_f16_e32 v44, 0xb08e, v54
	v_add_f16_e32 v12, v15, v12
	v_add_f16_e32 v15, v46, v19
	;; [unrolled: 1-line block ×3, first 2 shown]
	v_sub_f16_e32 v14, v18, v39
	v_mul_f16_e32 v47, 0xbbad, v93
	v_alignbit_b32 v19, v97, v97, 16
	v_bfi_b32 v4, 0xffff, v6, v7
	v_pk_add_f16 v6, v36, v13 neg_lo:[0,1] neg_hi:[0,1]
	v_pk_add_f16 v7, v53, v90
	v_pk_add_f16 v3, v5, v3
	;; [unrolled: 1-line block ×3, first 2 shown]
	v_bfi_b32 v5, 0xffff, v51, v89
	v_mul_f16_e32 v35, 0x3abb, v93
	v_mul_f16_e32 v48, 0x3abb, v95
	v_add_f16_e32 v12, v15, v12
	v_add_f16_e32 v15, v49, v44
	;; [unrolled: 1-line block ×3, first 2 shown]
	v_sub_f16_e32 v14, v43, v45
	v_bfi_b32 v6, 0xffff, v6, v7
	v_pk_add_f16 v0, v0, v3
	v_pk_add_f16 v2, v4, v2
	v_pk_add_f16 v3, v47, v5 neg_lo:[0,1] neg_hi:[0,1]
	v_pk_add_f16 v4, v19, v89
	v_add_f16_e32 v12, v15, v12
	v_add_f16_e32 v15, v56, v48
	;; [unrolled: 1-line block ×3, first 2 shown]
	v_sub_f16_e32 v5, v35, v52
	v_pk_add_f16 v0, v1, v0
	v_pk_add_f16 v1, v6, v2
	v_bfi_b32 v2, 0xffff, v3, v4
	v_add_f16_e32 v7, v15, v12
	v_add_f16_e32 v3, v5, v8
	v_lshlrev_b32_e32 v4, 2, v87
	v_pk_add_f16 v0, v29, v0
	v_pk_add_f16 v1, v2, v1
	v_perm_b32 v5, v23, v22, 0x5040100
	v_pack_b32_f16 v2, v3, v7
	v_perm_b32 v3, v21, v20, 0x5040100
	v_perm_b32 v6, v85, v42, 0x5040100
	v_alignbit_b32 v7, v86, v85, 16
	v_perm_b32 v8, v83, v27, 0x5040100
	v_perm_b32 v9, v84, v30, 0x5040100
	v_bfi_b32 v10, 0xffff, v81, v42
	v_perm_b32 v11, v82, v28, 0x5040100
	ds_store_2addr_b32 v4, v0, v1 offset1:1
	ds_store_2addr_b32 v4, v2, v3 offset0:2 offset1:3
	ds_store_b32 v4, v5 offset:16
	ds_store_2addr_b32 v4, v6, v7 offset0:5 offset1:6
	ds_store_2addr_b32 v4, v9, v8 offset0:7 offset1:8
	;; [unrolled: 1-line block ×3, first 2 shown]
.LBB0_7:
	s_wait_alu 0xfffe
	s_or_b32 exec_lo, exec_lo, s0
	v_add_nc_u32_e32 v4, 0xe00, v57
	v_add_nc_u32_e32 v0, 0xa00, v57
	;; [unrolled: 1-line block ×6, first 2 shown]
	global_wb scope:SCOPE_SE
	s_wait_dscnt 0x0
	s_barrier_signal -1
	s_barrier_wait -1
	global_inv scope:SCOPE_SE
	ds_load_2addr_b32 v[2:3], v57 offset1:110
	ds_load_2addr_b32 v[0:1], v0 offset0:20 offset1:185
	ds_load_2addr_b32 v[14:15], v4 offset0:39 offset1:149
	;; [unrolled: 1-line block ×6, first 2 shown]
	v_cmp_gt_u16_e64 s0, 55, v73
	s_delay_alu instid0(VALU_DEP_1)
	s_and_saveexec_b32 s1, s0
	s_cbranch_execz .LBB0_9
; %bb.8:
	ds_load_b32 v20, v57 offset:3080
	ds_load_b32 v22, v57 offset:6380
	s_wait_dscnt 0x1
	v_lshrrev_b32_e32 v21, 16, v20
	s_wait_dscnt 0x0
	v_lshrrev_b32_e32 v23, 16, v22
.LBB0_9:
	s_wait_alu 0xfffe
	s_or_b32 exec_lo, exec_lo, s1
	v_and_b32_e32 v12, 0xff, v73
	v_and_b32_e32 v17, 0xff, v16
	v_add_co_u32 v19, null, 0x14a, v73
	v_add_co_u32 v29, null, 0x1b8, v73
	s_delay_alu instid0(VALU_DEP_4) | instskip(NEXT) | instid1(VALU_DEP_4)
	v_mul_lo_u16 v12, 0x75, v12
	v_mul_lo_u16 v13, 0x75, v17
	v_add_co_u32 v36, null, 0x294, v73
	v_add_co_u32 v34, null, 0x226, v73
	s_delay_alu instid0(VALU_DEP_4) | instskip(NEXT) | instid1(VALU_DEP_4)
	v_lshrrev_b16 v32, 8, v12
	v_lshrrev_b16 v33, 8, v13
	v_add_co_u32 v12, s1, 0xdc, v73
	v_add_nc_u16 v37, v73, 0x302
	s_delay_alu instid0(VALU_DEP_4) | instskip(NEXT) | instid1(VALU_DEP_4)
	v_sub_nc_u16 v18, v73, v32
	v_sub_nc_u16 v31, v16, v33
	v_and_b32_e32 v39, 0xffff, v19
	v_and_b32_e32 v40, 0xffff, v29
	v_and_b32_e32 v45, 0xffff, v37
	v_lshrrev_b16 v35, 1, v18
	v_lshrrev_b16 v31, 1, v31
	v_and_b32_e32 v18, 0xffff, v12
	s_wait_dscnt 0x2
	v_lshrrev_b32_e32 v114, 16, v10
	v_mul_u32_u24_e32 v45, 0xba2f, v45
	v_and_b32_e32 v35, 0x7f, v35
	v_and_b32_e32 v38, 0x7f, v31
	v_mul_u32_u24_e32 v31, 0xba2f, v18
	v_lshrrev_b32_e32 v116, 16, v11
	v_lshrrev_b32_e32 v45, 19, v45
	v_add_nc_u16 v32, v35, v32
	v_add_nc_u16 v33, v38, v33
	v_and_b32_e32 v38, 0xffff, v36
	v_and_b32_e32 v35, 0xffff, v34
	v_lshrrev_b32_e32 v41, 19, v31
	v_lshrrev_b16 v43, 3, v32
	v_mul_u32_u24_e32 v32, 0xba2f, v39
	v_lshrrev_b16 v44, 3, v33
	v_mul_u32_u24_e32 v33, 0xba2f, v40
	v_mul_u32_u24_e32 v38, 0xba2f, v38
	;; [unrolled: 1-line block ×3, first 2 shown]
	v_lshrrev_b32_e32 v48, 19, v32
	v_mul_lo_u16 v46, v43, 11
	v_lshrrev_b32_e32 v49, 19, v33
	v_lshrrev_b32_e32 v38, 19, v38
	;; [unrolled: 1-line block ×3, first 2 shown]
	v_mul_lo_u16 v47, v44, 11
	v_mul_lo_u16 v39, v41, 11
	;; [unrolled: 1-line block ×5, first 2 shown]
	v_sub_nc_u16 v40, v73, v46
	v_mul_lo_u16 v54, v35, 11
	v_mul_lo_u16 v56, v45, 11
	v_sub_nc_u16 v46, v16, v47
	v_sub_nc_u16 v39, v12, v39
	;; [unrolled: 1-line block ×5, first 2 shown]
	v_and_b32_e32 v40, 0xff, v40
	v_sub_nc_u16 v34, v34, v54
	v_sub_nc_u16 v37, v37, v56
	v_and_b32_e32 v46, 0xff, v46
	v_and_b32_e32 v47, 0xffff, v39
	;; [unrolled: 1-line block ×5, first 2 shown]
	v_lshlrev_b32_e32 v50, 2, v40
	v_and_b32_e32 v56, 0xffff, v34
	v_and_b32_e32 v89, 0xffff, v37
	v_lshlrev_b32_e32 v51, 2, v46
	v_lshlrev_b32_e32 v47, 2, v47
	;; [unrolled: 1-line block ×7, first 2 shown]
	s_clause 0x7
	global_load_b32 v96, v50, s[2:3]
	global_load_b32 v95, v51, s[2:3]
	;; [unrolled: 1-line block ×8, first 2 shown]
	v_mad_u16 v39, v41, 22, v39
	v_mad_u16 v41, v48, 22, v52
	;; [unrolled: 1-line block ×5, first 2 shown]
	v_and_b32_e32 v36, 0xffff, v39
	v_and_b32_e32 v37, 0xffff, v41
	;; [unrolled: 1-line block ×4, first 2 shown]
	v_mad_u16 v48, v49, 22, v53
	v_lshrrev_b32_e32 v50, 16, v1
	v_and_b32_e32 v34, 0xffff, v34
	v_and_b32_e32 v35, 0xffff, v35
	v_lshrrev_b32_e32 v54, 16, v14
	v_lshlrev_b32_e32 v97, 2, v36
	v_lshlrev_b32_e32 v98, 2, v37
	v_mul_u32_u24_e32 v36, 22, v39
	v_mul_u32_u24_e32 v37, 22, v41
	v_lshrrev_b32_e32 v56, 16, v15
	v_and_b32_e32 v38, 0xffff, v48
	s_wait_dscnt 0x0
	v_lshrrev_b32_e32 v118, 16, v8
	v_lshrrev_b32_e32 v120, 16, v9
	v_lshlrev_b32_e32 v100, 2, v34
	v_lshlrev_b32_e32 v101, 2, v35
	v_add_lshl_u32 v103, v36, v40, 2
	v_add_lshl_u32 v104, v37, v46, 2
	v_lshlrev_b32_e32 v99, 2, v38
	v_lshrrev_b32_e32 v47, 16, v2
	v_lshrrev_b32_e32 v51, 16, v3
	;; [unrolled: 1-line block ×7, first 2 shown]
	s_wait_alu 0xf1ff
	v_add_co_ci_u32_e64 v13, null, 0, 0, s1
	global_wb scope:SCOPE_SE
	s_wait_loadcnt 0x0
	s_barrier_signal -1
	s_barrier_wait -1
	global_inv scope:SCOPE_SE
	v_lshrrev_b32_e32 v112, 16, v96
	v_lshrrev_b32_e32 v111, 16, v95
	;; [unrolled: 1-line block ×8, first 2 shown]
	v_mul_f16_e32 v34, v50, v112
	v_mul_f16_e32 v35, v1, v112
	;; [unrolled: 1-line block ×16, first 2 shown]
	v_fma_f16 v1, v1, v96, -v34
	v_fmac_f16_e32 v35, v50, v96
	v_fma_f16 v14, v14, v95, -v36
	v_fmac_f16_e32 v37, v54, v95
	;; [unrolled: 2-line block ×8, first 2 shown]
	v_sub_f16_e32 v1, v2, v1
	v_sub_f16_e32 v23, v47, v35
	;; [unrolled: 1-line block ×15, first 2 shown]
	v_fma_f16 v2, v2, 2.0, -v1
	v_fma_f16 v22, v47, 2.0, -v23
	;; [unrolled: 1-line block ×10, first 2 shown]
	v_sub_f16_e64 v131, v21, v53
	v_fma_f16 v5, v5, 2.0, -v8
	v_fma_f16 v46, v117, 2.0, -v38
	;; [unrolled: 1-line block ×4, first 2 shown]
	v_pack_b32_f16 v1, v1, v23
	v_pack_b32_f16 v2, v2, v22
	;; [unrolled: 1-line block ×14, first 2 shown]
	ds_store_2addr_b32 v103, v2, v1 offset1:11
	ds_store_2addr_b32 v104, v3, v14 offset1:11
	;; [unrolled: 1-line block ×7, first 2 shown]
	s_and_saveexec_b32 s1, s0
	s_cbranch_execz .LBB0_11
; %bb.10:
	v_fma_f16 v0, v20, 2.0, -v41
	v_and_b32_e32 v1, 0xffff, v92
	v_fma_f16 v2, v21, 2.0, -v131
	s_delay_alu instid0(VALU_DEP_2) | instskip(NEXT) | instid1(VALU_DEP_2)
	v_lshlrev_b32_e32 v1, 2, v1
	v_pack_b32_f16 v0, v0, v2
	v_perm_b32 v2, v131, v41, 0x5040100
	ds_store_2addr_b32 v1, v0, v2 offset1:11
.LBB0_11:
	s_wait_alu 0xfffe
	s_or_b32 exec_lo, exec_lo, s1
	v_lshrrev_b16 v0, 1, v73
	v_lshrrev_b32_e32 v43, 20, v33
	v_lshrrev_b16 v1, 1, v17
	v_lshrrev_b32_e32 v44, 20, v31
	v_lshrrev_b32_e32 v45, 20, v32
	v_and_b32_e32 v0, 0x7f, v0
	v_mul_lo_u16 v2, v43, 22
	v_mul_lo_u16 v1, 0xbb, v1
	global_wb scope:SCOPE_SE
	s_wait_dscnt 0x0
	s_barrier_signal -1
	v_mul_lo_u16 v0, 0xbb, v0
	v_sub_nc_u16 v47, v29, v2
	v_mul_lo_u16 v2, v45, 22
	v_lshrrev_b16 v53, 11, v1
	s_barrier_wait -1
	v_lshrrev_b16 v46, 11, v0
	v_mul_lo_u16 v0, v44, 22
	v_sub_nc_u16 v19, v19, v2
	v_mul_lo_u16 v2, v53, 22
	global_inv scope:SCOPE_SE
	v_mul_lo_u16 v1, v46, 22
	v_sub_nc_u16 v54, v12, v0
	v_lshlrev_b16 v0, 3, v47
	v_sub_nc_u16 v2, v16, v2
	v_lshlrev_b16 v4, 3, v19
	;; [unrolled: 2-line block ×3, first 2 shown]
	v_and_b32_e32 v0, 0xffff, v0
	v_and_b32_e32 v56, 0xff, v2
	;; [unrolled: 1-line block ×5, first 2 shown]
	v_add_co_u32 v0, s1, s2, v0
	s_wait_alu 0xf1ff
	v_add_co_ci_u32_e64 v1, null, s3, 0, s1
	v_lshlrev_b32_e32 v2, 3, v55
	v_lshlrev_b32_e32 v5, 3, v56
	v_add_nc_u32_e32 v29, 0x600, v57
	global_load_b64 v[31:32], v[0:1], off offset:44
	v_add_nc_u32_e32 v50, 0x1000, v57
	global_load_b64 v[39:40], v2, s[2:3] offset:44
	v_add_co_u32 v0, s1, s2, v3
	s_wait_alu 0xf1ff
	v_add_co_ci_u32_e64 v1, null, s3, 0, s1
	v_add_co_u32 v2, s1, s2, v4
	s_wait_alu 0xf1ff
	v_add_co_ci_u32_e64 v3, null, s3, 0, s1
	s_clause 0x2
	global_load_b64 v[37:38], v5, s[2:3] offset:44
	global_load_b64 v[35:36], v[0:1], off offset:44
	global_load_b64 v[33:34], v[2:3], off offset:44
	v_add_co_u32 v10, s1, 0xffffffbe, v73
	v_add_nc_u32_e32 v49, 0x1400, v57
	s_wait_alu 0xf1ff
	v_add_co_ci_u32_e64 v11, null, 0, -1, s1
	v_mul_lo_u16 v17, 0xf9, v17
	v_mul_u32_u24_e32 v20, 0xf83f, v18
	v_cmp_gt_u16_e64 s1, 0x42, v73
	v_add_nc_u32_e32 v48, 0xa00, v57
	v_add_nc_u32_e32 v52, 0xc00, v57
	;; [unrolled: 1-line block ×3, first 2 shown]
	ds_load_2addr_b32 v[0:1], v57 offset1:110
	ds_load_b32 v118, v57 offset:6160
	ds_load_2addr_b32 v[2:3], v29 offset0:56 offset1:166
	ds_load_2addr_b32 v[4:5], v50 offset0:76 offset1:186
	;; [unrolled: 1-line block ×4, first 2 shown]
	s_wait_alu 0xf1ff
	v_cndmask_b32_e64 v15, v11, 0, s1
	v_cndmask_b32_e64 v14, v10, v73, s1
	v_lshrrev_b16 v18, 14, v17
	v_lshrrev_b32_e32 v17, 22, v20
	ds_load_2addr_b32 v[10:11], v49 offset0:40 offset1:150
	ds_load_2addr_b32 v[20:21], v52 offset0:112 offset1:222
	v_and_b32_e32 v53, 0xffff, v53
	v_mad_u16 v44, 0x42, v44, v54
	v_mad_u16 v45, 0x42, v45, v19
	v_mul_lo_u16 v113, 0x42, v17
	v_and_b32_e32 v46, 0xffff, v46
	v_mul_u32_u24_e32 v53, 0x42, v53
	v_and_b32_e32 v44, 0xffff, v44
	v_and_b32_e32 v45, 0xffff, v45
	v_sub_nc_u16 v19, v12, v113
	v_mul_u32_u24_e32 v46, 0x42, v46
	v_mad_u16 v43, 0x42, v43, v47
	v_lshlrev_b32_e32 v115, 2, v44
	s_wait_dscnt 0x6
	v_lshrrev_b32_e32 v119, 16, v118
	v_lshlrev_b16 v116, 4, v19
	s_wait_dscnt 0x5
	v_lshrrev_b32_e32 v120, 16, v3
	s_wait_dscnt 0x4
	v_lshrrev_b32_e32 v132, 16, v4
	v_lshlrev_b32_e32 v114, 2, v45
	v_add_lshl_u32 v117, v46, v55, 2
	v_and_b32_e32 v44, 0xffff, v116
	s_wait_dscnt 0x0
	v_lshrrev_b32_e32 v142, 16, v21
	v_add_lshl_u32 v116, v53, v56, 2
	v_lshrrev_b32_e32 v133, 16, v6
	v_lshrrev_b32_e32 v134, 16, v5
	;; [unrolled: 1-line block ×11, first 2 shown]
	v_lshlrev_b64_e32 v[22:23], 4, v[14:15]
	v_mul_lo_u16 v15, 0x42, v18
	v_and_b32_e32 v43, 0xffff, v43
	global_wb scope:SCOPE_SE
	s_wait_loadcnt 0x0
	s_barrier_signal -1
	s_barrier_wait -1
	v_sub_nc_u16 v15, v16, v15
	v_add_co_u32 v22, s1, s2, v22
	s_wait_alu 0xf1ff
	v_add_co_ci_u32_e64 v23, s1, s3, v23, s1
	s_delay_alu instid0(VALU_DEP_3)
	v_and_b32_e32 v15, 0xff, v15
	v_lshlrev_b32_e32 v113, 2, v43
	global_inv scope:SCOPE_SE
	v_mad_u16 v19, 0x14a, v17, v19
	v_lshlrev_b64_e32 v[12:13], 4, v[12:13]
	v_lshlrev_b32_e32 v43, 4, v15
	v_lshlrev_b32_e32 v16, 4, v16
	s_delay_alu instid0(VALU_DEP_4) | instskip(SKIP_4) | instid1(VALU_DEP_4)
	v_and_b32_e32 v19, 0xffff, v19
	v_lshrrev_b32_e32 v122, 16, v31
	v_lshrrev_b32_e32 v121, 16, v32
	;; [unrolled: 1-line block ×4, first 2 shown]
	v_mul_f16_e64 v45, v142, v122
	v_mul_f16_e32 v46, v21, v122
	v_mul_f16_e32 v53, v119, v121
	;; [unrolled: 1-line block ×3, first 2 shown]
	v_mul_f16_e64 v56, v3, v130
	v_lshrrev_b32_e32 v128, 16, v37
	v_lshrrev_b32_e32 v127, 16, v38
	;; [unrolled: 1-line block ×6, first 2 shown]
	v_fma_f16 v21, v21, v31, -v45
	v_fmac_f16_e64 v46, v142, v31
	v_fma_f16 v45, v118, v32, -v53
	v_fmac_f16_e32 v55, v119, v32
	v_mul_f16_e64 v53, v120, v130
	v_mul_f16_e64 v118, v132, v129
	;; [unrolled: 1-line block ×15, first 2 shown]
	v_add_f16_e64 v157, v141, v46
	v_fma_f16 v3, v3, v39, -v53
	v_fmac_f16_e32 v56, v120, v39
	v_fma_f16 v4, v4, v40, -v118
	v_fmac_f16_e64 v119, v132, v40
	v_fma_f16 v6, v6, v37, -v142
	v_fmac_f16_e64 v143, v133, v37
	;; [unrolled: 2-line block ×5, first 2 shown]
	v_add_f16_e64 v154, v2, v21
	v_sub_f16_e64 v156, v46, v55
	v_add_f16_e32 v46, v46, v55
	v_fma_f16 v20, v20, v33, -v150
	v_fmac_f16_e64 v151, v139, v33
	v_fma_f16 v11, v11, v34, -v152
	v_fmac_f16_e64 v153, v140, v34
	v_add_f16_e64 v53, v157, v55
	v_add_f16_e32 v55, v3, v4
	v_sub_f16_e32 v118, v56, v119
	v_add_f16_e32 v120, v47, v56
	v_add_f16_e32 v56, v56, v119
	v_add_f16_e64 v133, v6, v5
	v_add_f16_e64 v137, v143, v145
	;; [unrolled: 1-line block ×5, first 2 shown]
	v_sub_f16_e32 v21, v21, v45
	v_add_f16_e64 v45, v154, v45
	v_fmac_f16_e64 v141, -0.5, v46
	v_add_f16_e32 v46, v0, v3
	v_sub_f16_e32 v3, v3, v4
	v_sub_f16_e64 v134, v143, v145
	v_add_f16_e64 v136, v54, v143
	v_sub_f16_e64 v142, v147, v149
	v_add_f16_e64 v143, v135, v147
	v_add_f16_e64 v147, v20, v11
	v_sub_f16_e64 v148, v151, v153
	v_add_f16_e64 v150, v138, v151
	v_add_f16_e64 v151, v151, v153
	v_fma_f16 v0, -0.5, v55, v0
	v_fmac_f16_e32 v47, -0.5, v56
	v_add_f16_e64 v132, v1, v6
	v_sub_f16_e32 v6, v6, v5
	v_fmac_f16_e64 v1, -0.5, v133
	v_fmac_f16_e64 v54, -0.5, v137
	v_add_f16_e64 v139, v8, v7
	v_sub_f16_e32 v7, v7, v10
	v_fma_f16 v8, -0.5, v140, v8
	v_fmac_f16_e64 v135, -0.5, v144
	v_fmac_f16_e64 v2, -0.5, v155
	v_add_f16_e64 v146, v9, v20
	v_sub_f16_e32 v20, v20, v11
	v_fma_f16 v154, 0xbaee, v21, v141
	v_fmac_f16_e64 v141, 0x3aee, v21
	v_pack_b32_f16 v21, v45, v53
	v_add_f16_e32 v4, v46, v4
	v_add_f16_e32 v45, v120, v119
	v_fmac_f16_e64 v9, -0.5, v147
	v_fmac_f16_e64 v138, -0.5, v151
	v_fmamk_f16 v119, v118, 0x3aee, v0
	v_fmac_f16_e32 v0, 0xbaee, v118
	v_fmamk_f16 v118, v3, 0xbaee, v47
	v_fmac_f16_e32 v47, 0x3aee, v3
	v_add_f16_e64 v5, v132, v5
	v_add_f16_e64 v46, v136, v145
	v_fma_f16 v3, 0x3aee, v134, v1
	v_fmamk_f16 v120, v6, 0xbaee, v54
	v_fmac_f16_e64 v1, 0xbaee, v134
	v_fmac_f16_e32 v54, 0x3aee, v6
	v_add_f16_e64 v10, v139, v10
	v_add_f16_e64 v53, v143, v149
	v_fma_f16 v6, 0x3aee, v142, v8
	v_fma_f16 v132, 0xbaee, v7, v135
	;; [unrolled: 1-line block ×3, first 2 shown]
	v_fmac_f16_e64 v2, 0xbaee, v156
	v_add_f16_e64 v11, v146, v11
	v_add_f16_e64 v55, v150, v153
	v_fmac_f16_e64 v8, 0xbaee, v142
	v_fmac_f16_e64 v135, 0x3aee, v7
	v_fma_f16 v7, 0x3aee, v148, v9
	v_fmac_f16_e64 v9, 0xbaee, v148
	v_fma_f16 v133, 0xbaee, v20, v138
	v_fmac_f16_e64 v138, 0x3aee, v20
	v_pack_b32_f16 v4, v4, v45
	v_pack_b32_f16 v20, v119, v118
	;; [unrolled: 1-line block ×14, first 2 shown]
	ds_store_2addr_b32 v117, v4, v20 offset1:22
	ds_store_b32 v117, v0 offset:176
	ds_store_2addr_b32 v116, v5, v3 offset1:22
	ds_store_b32 v116, v1 offset:176
	;; [unrolled: 2-line block ×5, first 2 shown]
	v_add_co_u32 v0, s1, s2, v44
	global_wb scope:SCOPE_SE
	s_wait_dscnt 0x0
	s_barrier_signal -1
	s_barrier_wait -1
	global_inv scope:SCOPE_SE
	global_load_b128 v[8:11], v[22:23], off offset:220
	s_wait_alu 0xf1ff
	v_add_co_ci_u32_e64 v1, null, s3, 0, s1
	s_clause 0x1
	global_load_b128 v[4:7], v43, s[2:3] offset:220
	global_load_b128 v[0:3], v[0:1], off offset:220
	v_cmp_lt_u16_e64 s1, 0x41, v73
	v_and_b32_e32 v55, 0xffff, v18
	ds_load_2addr_b32 v[20:21], v57 offset1:110
	ds_load_2addr_b32 v[22:23], v51 offset0:92 offset1:202
	ds_load_2addr_b32 v[43:44], v48 offset0:20 offset1:130
	ds_load_2addr_b32 v[45:46], v52 offset0:112 offset1:222
	ds_load_2addr_b32 v[53:54], v49 offset0:40 offset1:150
	ds_load_2addr_b32 v[17:18], v29 offset0:56 offset1:166
	v_lshlrev_b32_e32 v144, 4, v73
	s_wait_alu 0xf1ff
	v_cndmask_b32_e64 v47, 0, 0x14a, s1
	v_mul_u32_u24_e32 v118, 0x14a, v55
	ds_load_2addr_b32 v[55:56], v50 offset0:76 offset1:186
	v_add_co_u32 v12, s1, s2, v12
	v_add_lshl_u32 v120, v14, v47, 2
	ds_load_b32 v14, v57 offset:6160
	v_add_lshl_u32 v119, v118, v15, 2
	v_lshlrev_b32_e32 v118, 2, v19
	s_wait_alu 0xf1ff
	v_add_co_ci_u32_e64 v13, s1, s3, v13, s1
	global_wb scope:SCOPE_SE
	s_wait_loadcnt_dscnt 0x0
	s_barrier_signal -1
	v_lshrrev_b32_e32 v15, 16, v20
	v_lshrrev_b32_e32 v19, 16, v23
	;; [unrolled: 1-line block ×15, first 2 shown]
	s_barrier_wait -1
	global_inv scope:SCOPE_SE
	v_lshrrev_b32_e32 v143, 16, v8
	v_lshrrev_b32_e32 v142, 16, v9
	;; [unrolled: 1-line block ×12, first 2 shown]
	v_mul_f16_e64 v157, v19, v143
	v_mul_f16_e64 v158, v23, v143
	;; [unrolled: 1-line block ×24, first 2 shown]
	v_fma_f16 v23, v23, v8, -v157
	v_fmac_f16_e64 v158, v19, v8
	v_fma_f16 v19, v43, v9, -v159
	v_fmac_f16_e64 v160, v47, v9
	;; [unrolled: 2-line block ×12, first 2 shown]
	v_add_f16_e32 v55, v20, v23
	v_add_f16_e32 v56, v19, v43
	v_sub_f16_e64 v148, v23, v19
	v_sub_f16_e64 v149, v46, v43
	v_add_f16_e64 v150, v23, v46
	v_add_f16_e64 v154, v15, v158
	;; [unrolled: 1-line block ×4, first 2 shown]
	v_sub_f16_e64 v145, v158, v164
	v_sub_f16_e64 v151, v19, v23
	;; [unrolled: 1-line block ×7, first 2 shown]
	v_add_f16_e64 v165, v21, v17
	v_add_f16_e64 v167, v44, v47
	;; [unrolled: 1-line block ×10, first 2 shown]
	v_sub_f16_e32 v23, v23, v46
	v_sub_f16_e64 v156, v19, v43
	v_add_f16_e64 v189, v22, v18
	v_add_f16_e64 v198, v152, v174
	v_add_f16_e32 v19, v55, v19
	v_add_f16_e64 v55, v148, v149
	v_add_f16_e64 v149, v154, v160
	v_fma_f16 v56, -0.5, v56, v20
	v_fma_f16 v20, -0.5, v150, v20
	;; [unrolled: 1-line block ×3, first 2 shown]
	v_sub_f16_e64 v146, v160, v162
	v_sub_f16_e64 v173, v17, v44
	;; [unrolled: 1-line block ×3, first 2 shown]
	v_fmac_f16_e64 v15, -0.5, v161
	v_sub_f16_e64 v169, v166, v172
	v_sub_f16_e64 v179, v44, v17
	v_sub_f16_e32 v17, v17, v53
	v_sub_f16_e64 v184, v44, v47
	v_add_f16_e64 v148, v151, v153
	v_add_f16_e64 v151, v157, v159
	;; [unrolled: 1-line block ×4, first 2 shown]
	v_fma_f16 v154, -0.5, v167, v21
	v_add_f16_e64 v158, v182, v168
	v_fma_f16 v159, -0.5, v183, v147
	v_sub_f16_e64 v171, v168, v170
	v_sub_f16_e64 v181, v47, v53
	v_sub_f16_e64 v185, v166, v168
	v_sub_f16_e64 v166, v168, v166
	v_sub_f16_e64 v192, v176, v178
	v_sub_f16_e64 v200, v45, v54
	v_fmac_f16_e64 v21, -0.5, v177
	v_fmac_f16_e64 v147, -0.5, v187
	v_fma_f16 v163, -0.5, v190, v22
	v_fmac_f16_e64 v22, -0.5, v195
	v_fma_f16 v168, -0.5, v199, v152
	v_fmac_f16_e64 v152, -0.5, v203
	v_sub_f16_e64 v191, v174, v180
	v_sub_f16_e64 v193, v18, v45
	;; [unrolled: 1-line block ×3, first 2 shown]
	v_sub_f16_e32 v18, v18, v14
	v_add_f16_e64 v45, v189, v45
	v_add_f16_e64 v167, v198, v176
	v_add_f16_e32 v19, v19, v43
	v_fma_f16 v43, 0x3b9c, v145, v56
	v_add_f16_e64 v149, v149, v162
	v_fma_f16 v162, 0xbb9c, v23, v150
	v_sub_f16_e64 v201, v174, v176
	v_sub_f16_e64 v174, v176, v174
	v_add_f16_e64 v155, v173, v175
	v_fma_f16 v175, 0xbb9c, v146, v20
	v_fmac_f16_e64 v20, 0x3b9c, v146
	v_fma_f16 v176, 0x3b9c, v156, v15
	v_fmac_f16_e64 v15, 0xbb9c, v156
	v_fmac_f16_e64 v56, 0xbb9c, v145
	;; [unrolled: 1-line block ×3, first 2 shown]
	v_sub_f16_e64 v186, v172, v170
	v_sub_f16_e64 v188, v170, v172
	v_add_f16_e32 v44, v44, v47
	v_fma_f16 v47, 0x3b9c, v169, v154
	v_add_f16_e64 v158, v158, v170
	v_fma_f16 v170, 0xbb9c, v17, v159
	v_sub_f16_e64 v197, v54, v14
	v_sub_f16_e64 v204, v178, v180
	v_add_f16_e64 v157, v179, v181
	v_fma_f16 v177, 0xbb9c, v171, v21
	v_fmac_f16_e64 v21, 0x3b9c, v171
	v_fma_f16 v179, 0x3b9c, v184, v147
	v_fmac_f16_e64 v147, 0xbb9c, v184
	;; [unrolled: 2-line block ×4, first 2 shown]
	v_sub_f16_e64 v194, v14, v54
	v_sub_f16_e64 v202, v180, v178
	v_fmac_f16_e64 v154, 0xbb9c, v169
	v_fmac_f16_e64 v159, 0x3b9c, v17
	v_add_f16_e32 v45, v45, v54
	v_fma_f16 v54, 0x3b9c, v191, v163
	v_fmac_f16_e64 v163, 0xbb9c, v191
	v_add_f16_e64 v167, v167, v178
	v_fma_f16 v178, 0xbb9c, v18, v168
	v_fmac_f16_e64 v168, 0x3b9c, v18
	v_fmac_f16_e64 v43, 0x38b4, v146
	v_fmac_f16_e64 v162, 0xb8b4, v156
	v_fmac_f16_e64 v175, 0x38b4, v145
	v_fmac_f16_e64 v20, 0xb8b4, v145
	v_fmac_f16_e64 v176, 0xb8b4, v23
	v_fmac_f16_e32 v15, 0x38b4, v23
	v_fmac_f16_e64 v56, 0xb8b4, v146
	v_fmac_f16_e64 v150, 0x38b4, v156
	v_add_f16_e64 v160, v185, v186
	v_fmac_f16_e64 v47, 0x38b4, v171
	v_fmac_f16_e64 v170, 0xb8b4, v184
	v_add_f16_e64 v161, v166, v188
	v_add_f16_e64 v166, v196, v197
	v_add_f16_e64 v174, v174, v204
	v_fmac_f16_e64 v177, 0x38b4, v169
	v_fmac_f16_e64 v21, 0xb8b4, v169
	v_fmac_f16_e64 v179, 0xb8b4, v17
	v_fmac_f16_e64 v147, 0x38b4, v17
	v_fmac_f16_e64 v22, 0xb8b4, v191
	v_fmac_f16_e64 v152, 0x38b4, v18
	v_add_f16_e64 v165, v193, v194
	v_add_f16_e64 v173, v201, v202
	v_add_f16_e32 v19, v19, v46
	v_add_f16_e64 v46, v149, v164
	v_fmac_f16_e64 v154, 0xb8b4, v171
	v_fmac_f16_e64 v159, 0x38b4, v184
	v_add_f16_e32 v14, v45, v14
	v_fmac_f16_e64 v54, 0x38b4, v192
	v_fmac_f16_e64 v163, 0xb8b4, v192
	;; [unrolled: 1-line block ×3, first 2 shown]
	v_add_f16_e64 v17, v167, v180
	v_fmac_f16_e64 v178, 0xb8b4, v200
	v_fmac_f16_e64 v168, 0x38b4, v200
	;; [unrolled: 1-line block ×3, first 2 shown]
	v_fmac_f16_e32 v43, 0x34f2, v55
	v_fmac_f16_e64 v162, 0x34f2, v151
	v_add_f16_e32 v23, v44, v53
	v_add_f16_e64 v44, v158, v172
	v_fmac_f16_e64 v175, 0x34f2, v148
	v_fmac_f16_e64 v20, 0x34f2, v148
	;; [unrolled: 1-line block ×4, first 2 shown]
	v_fmac_f16_e32 v56, 0x34f2, v55
	v_fmac_f16_e64 v150, 0x34f2, v151
	v_fmac_f16_e64 v47, 0x34f2, v155
	;; [unrolled: 1-line block ×17, first 2 shown]
	v_pack_b32_f16 v18, v19, v46
	v_pack_b32_f16 v14, v14, v17
	;; [unrolled: 1-line block ×15, first 2 shown]
	ds_store_2addr_b32 v120, v18, v17 offset1:66
	ds_store_2addr_b32 v120, v23, v15 offset0:132 offset1:198
	ds_store_b32 v120, v20 offset:1056
	ds_store_2addr_b32 v119, v19, v43 offset1:66
	ds_store_2addr_b32 v119, v44, v21 offset0:132 offset1:198
	ds_store_b32 v119, v45 offset:1056
	ds_store_2addr_b32 v118, v14, v46 offset1:66
	ds_store_2addr_b32 v118, v47, v22 offset0:132 offset1:198
	ds_store_b32 v118, v53 offset:1056
	global_wb scope:SCOPE_SE
	s_wait_dscnt 0x0
	s_barrier_signal -1
	s_barrier_wait -1
	global_inv scope:SCOPE_SE
	s_clause 0x2
	global_load_b128 v[20:23], v144, s[2:3] offset:1276
	global_load_b128 v[16:19], v16, s[2:3] offset:1276
	global_load_b128 v[12:15], v[12:13], off offset:1276
	ds_load_2addr_b32 v[46:47], v57 offset1:110
	ds_load_2addr_b32 v[43:44], v51 offset0:92 offset1:202
	ds_load_2addr_b32 v[53:54], v48 offset0:20 offset1:130
	ds_load_2addr_b32 v[55:56], v52 offset0:112 offset1:222
	ds_load_2addr_b32 v[157:158], v49 offset0:40 offset1:150
	ds_load_2addr_b32 v[159:160], v29 offset0:56 offset1:166
	ds_load_2addr_b32 v[161:162], v50 offset0:76 offset1:186
	ds_load_b32 v45, v57 offset:6160
	s_add_nc_u64 s[2:3], s[12:13], 0x19c8
	s_wait_dscnt 0x7
	v_lshrrev_b32_e32 v163, 16, v46
	s_wait_dscnt 0x6
	v_lshrrev_b32_e32 v164, 16, v44
	;; [unrolled: 2-line block ×6, first 2 shown]
	v_lshrrev_b32_e32 v170, 16, v54
	s_wait_dscnt 0x1
	v_lshrrev_b32_e32 v171, 16, v161
	v_lshrrev_b32_e32 v172, 16, v158
	;; [unrolled: 1-line block ×5, first 2 shown]
	s_wait_dscnt 0x0
	v_lshrrev_b32_e32 v176, 16, v45
	v_lshrrev_b32_e32 v168, 16, v47
	v_lshrrev_b32_e32 v156, 16, v43
	s_wait_loadcnt 0x2
	v_lshrrev_b32_e32 v155, 16, v20
	v_lshrrev_b32_e32 v154, 16, v21
	v_lshrrev_b32_e32 v153, 16, v22
	v_lshrrev_b32_e32 v152, 16, v23
	s_wait_loadcnt 0x1
	v_lshrrev_b32_e32 v151, 16, v16
	;; [unrolled: 5-line block ×3, first 2 shown]
	v_lshrrev_b32_e32 v146, 16, v13
	v_lshrrev_b32_e32 v145, 16, v14
	;; [unrolled: 1-line block ×3, first 2 shown]
	v_mul_f16_e64 v177, v164, v155
	v_mul_f16_e64 v178, v44, v155
	;; [unrolled: 1-line block ×24, first 2 shown]
	v_fma_f16 v44, v44, v20, -v177
	v_fmac_f16_e64 v178, v164, v20
	v_fma_f16 v53, v53, v21, -v179
	v_fmac_f16_e64 v180, v165, v21
	;; [unrolled: 2-line block ×8, first 2 shown]
	v_fma_f16 v158, v160, v12, -v193
	v_fma_f16 v55, v55, v13, -v195
	v_fmac_f16_e64 v196, v174, v13
	v_fma_f16 v160, v162, v14, -v197
	v_fmac_f16_e64 v198, v175, v14
	v_fmac_f16_e64 v194, v173, v12
	v_fma_f16 v162, v45, v15, -v199
	v_fmac_f16_e64 v200, v176, v15
	v_sub_f16_e32 v45, v44, v53
	v_sub_f16_e64 v165, v164, v56
	v_add_f16_e64 v169, v163, v178
	v_add_f16_e64 v170, v180, v182
	;; [unrolled: 1-line block ×17, first 2 shown]
	v_sub_f16_e64 v166, v53, v44
	v_sub_f16_e64 v167, v56, v164
	;; [unrolled: 1-line block ×12, first 2 shown]
	v_add_f16_e64 v209, v156, v194
	v_sub_f16_e64 v218, v180, v182
	v_sub_f16_e64 v219, v53, v56
	;; [unrolled: 1-line block ×6, first 2 shown]
	v_add_f16_e64 v165, v45, v165
	v_fma_f16 v170, -0.5, v170, v163
	v_fmac_f16_e64 v163, -0.5, v173
	v_fma_f16 v173, -0.5, v177, v47
	v_fmac_f16_e64 v47, -0.5, v183
	;; [unrolled: 2-line block ×3, first 2 shown]
	v_add_f16_e64 v45, v216, v53
	v_add_f16_e64 v53, v169, v180
	;; [unrolled: 1-line block ×5, first 2 shown]
	v_fma_f16 v180, -0.5, v220, v46
	v_sub_f16_e64 v199, v188, v186
	v_sub_f16_e64 v178, v178, v184
	;; [unrolled: 1-line block ×4, first 2 shown]
	v_fma_f16 v176, -0.5, v217, v46
	v_sub_f16_e64 v211, v194, v196
	v_sub_f16_e64 v214, v196, v194
	;; [unrolled: 1-line block ×4, first 2 shown]
	v_fma_f16 v44, -0.5, v203, v43
	v_fma_f16 v158, -0.5, v210, v156
	v_sub_f16_e64 v225, v196, v198
	v_fmac_f16_e64 v43, -0.5, v206
	v_fmac_f16_e64 v156, -0.5, v213
	v_sub_f16_e64 v181, v161, v159
	v_sub_f16_e64 v187, v159, v161
	;; [unrolled: 1-line block ×5, first 2 shown]
	v_add_f16_e64 v166, v166, v167
	v_add_f16_e64 v167, v171, v172
	;; [unrolled: 1-line block ×5, first 2 shown]
	v_add_f16_e32 v56, v45, v56
	v_add_f16_e64 v53, v53, v182
	v_add_f16_e64 v54, v54, v159
	v_fma_f16 v188, 0xbb9c, v218, v180
	v_add_f16_e64 v189, v157, v190
	v_add_f16_e64 v55, v55, v160
	v_fma_f16 v160, 0x3b9c, v219, v163
	v_fma_f16 v193, 0xbb9c, v222, v47
	;; [unrolled: 1-line block ×4, first 2 shown]
	v_fmac_f16_e64 v176, 0xbb9c, v178
	v_fmac_f16_e64 v180, 0x3b9c, v218
	v_fma_f16 v190, 0xbb9c, v221, v170
	v_fmac_f16_e64 v170, 0x3b9c, v221
	v_fmac_f16_e64 v163, 0xbb9c, v219
	v_fma_f16 v191, 0x3b9c, v186, v173
	v_fmac_f16_e64 v173, 0xbb9c, v186
	v_fma_f16 v195, 0xbb9c, v223, v177
	v_fmac_f16_e64 v177, 0x3b9c, v223
	v_sub_f16_e64 v212, v200, v198
	v_fma_f16 v45, 0x3b9c, v194, v44
	v_fma_f16 v157, 0xbb9c, v226, v158
	v_sub_f16_e64 v215, v198, v200
	v_fmac_f16_e64 v47, 0x3b9c, v222
	v_fmac_f16_e64 v168, 0xbb9c, v224
	;; [unrolled: 1-line block ×3, first 2 shown]
	v_fma_f16 v46, 0xbb9c, v225, v43
	v_fmac_f16_e64 v43, 0x3b9c, v225
	v_fmac_f16_e64 v158, 0x3b9c, v226
	v_fma_f16 v159, 0x3b9c, v227, v156
	v_fmac_f16_e64 v156, 0xbb9c, v227
	v_add_f16_e64 v172, v179, v181
	v_add_f16_e64 v174, v185, v187
	;; [unrolled: 1-line block ×4, first 2 shown]
	v_fmac_f16_e64 v188, 0x38b4, v178
	v_add_f16_e64 v53, v53, v184
	v_fmac_f16_e64 v160, 0xb8b4, v221
	v_add_f16_e64 v54, v54, v161
	;; [unrolled: 2-line block ×4, first 2 shown]
	v_fmac_f16_e64 v176, 0xb8b4, v218
	v_fmac_f16_e64 v180, 0xb8b4, v178
	;; [unrolled: 1-line block ×8, first 2 shown]
	v_add_f16_e64 v181, v204, v205
	v_add_f16_e64 v185, v211, v212
	v_fmac_f16_e64 v191, 0x38b4, v222
	v_fmac_f16_e64 v195, 0xb8b4, v224
	;; [unrolled: 1-line block ×4, first 2 shown]
	v_add_f16_e64 v183, v207, v208
	v_add_f16_e64 v187, v214, v215
	v_fmac_f16_e64 v47, 0xb8b4, v186
	v_fmac_f16_e64 v168, 0x38b4, v223
	;; [unrolled: 1-line block ×12, first 2 shown]
	v_pack_b32_f16 v53, v56, v53
	v_pack_b32_f16 v54, v54, v161
	v_add_f16_e64 v55, v55, v162
	v_add_f16_e64 v162, v169, v200
	v_fmac_f16_e64 v176, 0x34f2, v165
	v_fmac_f16_e64 v180, 0x34f2, v166
	;; [unrolled: 1-line block ×20, first 2 shown]
	v_pack_b32_f16 v160, v188, v160
	ds_store_2addr_b32 v57, v53, v54 offset1:110
	v_pack_b32_f16 v54, v193, v196
	v_pack_b32_f16 v55, v55, v162
	;; [unrolled: 1-line block ×12, first 2 shown]
	ds_store_2addr_b32 v48, v160, v54 offset0:20 offset1:130
	ds_store_2addr_b32 v49, v162, v163 offset0:40 offset1:150
	ds_store_2addr_b32 v51, v55, v56 offset0:92 offset1:202
	ds_store_2addr_b32 v29, v53, v164 offset0:56 offset1:166
	ds_store_2addr_b32 v52, v165, v161 offset0:112 offset1:222
	ds_store_2addr_b32 v50, v47, v166 offset0:76 offset1:186
	ds_store_b32 v57, v167 offset:6160
	global_wb scope:SCOPE_SE
	s_wait_dscnt 0x0
	s_barrier_signal -1
	s_barrier_wait -1
	global_inv scope:SCOPE_SE
	s_clause 0xa
	global_load_b32 v47, v[24:25], off offset:6600
	global_load_b32 v52, v57, s[2:3] offset:600
	global_load_b32 v56, v57, s[2:3] offset:1800
	;; [unrolled: 1-line block ×10, first 2 shown]
	ds_load_2addr_b32 v[50:51], v57 offset1:150
	s_wait_dscnt 0x0
	v_lshrrev_b32_e32 v53, 16, v50
	v_lshrrev_b32_e32 v55, 16, v51
	s_wait_loadcnt 0xa
	v_lshrrev_b32_e32 v54, 16, v47
	s_wait_loadcnt 0x9
	;; [unrolled: 2-line block ×4, first 2 shown]
	v_lshrrev_b32_e32 v175, 16, v167
	v_mul_f16_e64 v161, v53, v54
	v_mul_f16_e32 v54, v50, v54
	v_mul_f16_e64 v162, v55, v160
	v_mul_f16_e64 v160, v51, v160
	s_wait_loadcnt 0x1
	v_lshrrev_b32_e32 v179, 16, v172
	v_fma_f16 v50, v50, v47, -v161
	v_fmac_f16_e32 v54, v53, v47
	v_fma_f16 v47, v51, v52, -v162
	v_fmac_f16_e64 v160, v55, v52
	v_add_nc_u32_e32 v51, 0x800, v57
	v_add_nc_u32_e32 v55, 0x1200, v57
	v_pack_b32_f16 v52, v50, v54
	v_add_nc_u32_e32 v50, 0x400, v57
	v_pack_b32_f16 v47, v47, v160
	v_lshrrev_b32_e32 v176, 16, v169
	v_lshrrev_b32_e32 v177, 16, v168
	;; [unrolled: 1-line block ×3, first 2 shown]
	s_wait_loadcnt 0x0
	v_lshrrev_b32_e32 v181, 16, v173
	ds_store_2addr_b32 v57, v52, v47 offset1:150
	v_add_nc_u32_e32 v52, 0xe00, v57
	ds_load_2addr_b32 v[53:54], v50 offset0:44 offset1:194
	ds_load_2addr_b32 v[160:161], v51 offset0:88 offset1:238
	;; [unrolled: 1-line block ×3, first 2 shown]
	ds_load_b32 v178, v57 offset:6000
	ds_load_2addr_b32 v[162:163], v52 offset0:4 offset1:154
	v_lshrrev_b32_e32 v47, 16, v56
	v_lshrrev_b32_e32 v182, 16, v171
	s_wait_dscnt 0x4
	v_lshrrev_b32_e32 v183, 16, v53
	v_lshrrev_b32_e32 v185, 16, v54
	s_wait_dscnt 0x3
	;; [unrolled: 3-line block ×3, first 2 shown]
	v_lshrrev_b32_e32 v191, 16, v162
	v_lshrrev_b32_e32 v193, 16, v163
	;; [unrolled: 1-line block ×5, first 2 shown]
	v_mul_f16_e64 v184, v53, v179
	v_mul_f16_e64 v186, v54, v47
	;; [unrolled: 1-line block ×18, first 2 shown]
	v_fmac_f16_e64 v184, v183, v172
	v_fmac_f16_e64 v186, v185, v56
	v_fma_f16 v53, v53, v172, -v179
	v_fma_f16 v47, v54, v56, -v47
	v_fmac_f16_e64 v188, v187, v166
	v_fmac_f16_e64 v190, v189, v167
	v_fma_f16 v54, v160, v166, -v174
	v_fma_f16 v56, v161, v167, -v175
	;; [unrolled: 4-line block ×4, first 2 shown]
	v_fmac_f16_e64 v200, v199, v171
	v_fma_f16 v164, v178, v171, -v182
	v_pack_b32_f16 v53, v53, v184
	v_pack_b32_f16 v47, v47, v186
	;; [unrolled: 1-line block ×9, first 2 shown]
	ds_store_2addr_b32 v50, v53, v47 offset0:44 offset1:194
	ds_store_2addr_b32 v51, v54, v56 offset0:88 offset1:238
	;; [unrolled: 1-line block ×4, first 2 shown]
	ds_store_b32 v57, v164 offset:6000
	s_and_saveexec_b32 s1, vcc_lo
	s_cbranch_execz .LBB0_13
; %bb.12:
	s_wait_alu 0xfffe
	v_add_co_u32 v53, s2, s2, v57
	s_wait_alu 0xf1ff
	v_add_co_ci_u32_e64 v54, null, s3, 0, s2
	v_add_nc_u32_e32 v160, 0x100, v57
	s_clause 0xa
	global_load_b32 v47, v[53:54], off offset:440
	global_load_b32 v56, v[53:54], off offset:1040
	global_load_b32 v166, v[53:54], off offset:1640
	global_load_b32 v167, v[53:54], off offset:2240
	global_load_b32 v168, v[53:54], off offset:2840
	global_load_b32 v169, v[53:54], off offset:3440
	global_load_b32 v170, v[53:54], off offset:4040
	global_load_b32 v171, v[53:54], off offset:4640
	global_load_b32 v172, v[53:54], off offset:5240
	global_load_b32 v173, v[53:54], off offset:5840
	global_load_b32 v174, v[53:54], off offset:6440
	ds_load_2addr_b32 v[53:54], v160 offset0:46 offset1:196
	s_wait_dscnt 0x0
	v_lshrrev_b32_e32 v161, 16, v53
	v_lshrrev_b32_e32 v163, 16, v54
	s_wait_loadcnt 0xa
	v_lshrrev_b32_e32 v162, 16, v47
	s_wait_loadcnt 0x9
	;; [unrolled: 2-line block ×3, first 2 shown]
	v_lshrrev_b32_e32 v176, 16, v168
	v_mul_f16_e64 v165, v161, v162
	v_mul_f16_e64 v162, v53, v162
	;; [unrolled: 1-line block ×4, first 2 shown]
	s_wait_loadcnt 0x5
	v_lshrrev_b32_e32 v177, 16, v169
	v_fma_f16 v53, v53, v47, -v165
	v_fmac_f16_e64 v162, v161, v47
	v_fma_f16 v47, v54, v56, -v175
	v_fmac_f16_e64 v164, v163, v56
	v_lshrrev_b32_e32 v56, 16, v166
	v_lshrrev_b32_e32 v175, 16, v167
	v_pack_b32_f16 v53, v53, v162
	s_wait_loadcnt 0x4
	v_lshrrev_b32_e32 v178, 16, v170
	v_pack_b32_f16 v47, v47, v164
	s_wait_loadcnt 0x3
	v_lshrrev_b32_e32 v179, 16, v171
	s_wait_loadcnt 0x2
	v_lshrrev_b32_e32 v181, 16, v172
	;; [unrolled: 2-line block ×4, first 2 shown]
	ds_store_2addr_b32 v160, v53, v47 offset0:46 offset1:196
	v_add_nc_u32_e32 v47, 0xf00, v57
	ds_load_2addr_b32 v[53:54], v29 offset0:26 offset1:176
	ds_load_2addr_b32 v[160:161], v48 offset0:70 offset1:220
	;; [unrolled: 1-line block ×4, first 2 shown]
	ds_load_b32 v180, v57 offset:6440
	s_wait_dscnt 0x4
	v_lshrrev_b32_e32 v184, 16, v53
	v_lshrrev_b32_e32 v186, 16, v54
	s_wait_dscnt 0x3
	v_lshrrev_b32_e32 v188, 16, v160
	v_lshrrev_b32_e32 v190, 16, v161
	;; [unrolled: 3-line block ×4, first 2 shown]
	s_wait_dscnt 0x0
	v_lshrrev_b32_e32 v200, 16, v180
	v_mul_f16_e64 v185, v53, v56
	v_mul_f16_e64 v187, v54, v175
	;; [unrolled: 1-line block ×18, first 2 shown]
	v_fmac_f16_e64 v185, v184, v166
	v_fmac_f16_e64 v187, v186, v167
	v_fma_f16 v53, v53, v166, -v56
	v_fma_f16 v54, v54, v167, -v175
	v_fmac_f16_e64 v189, v188, v168
	v_fmac_f16_e64 v191, v190, v169
	v_fma_f16 v56, v160, v168, -v176
	v_fma_f16 v160, v161, v169, -v177
	;; [unrolled: 4-line block ×4, first 2 shown]
	v_fmac_f16_e64 v201, v200, v174
	v_fma_f16 v165, v180, v174, -v183
	v_pack_b32_f16 v53, v53, v185
	v_pack_b32_f16 v54, v54, v187
	;; [unrolled: 1-line block ×9, first 2 shown]
	ds_store_2addr_b32 v29, v53, v54 offset0:26 offset1:176
	ds_store_2addr_b32 v48, v56, v160 offset0:70 offset1:220
	;; [unrolled: 1-line block ×4, first 2 shown]
	ds_store_b32 v57, v165 offset:6440
.LBB0_13:
	s_wait_alu 0xfffe
	s_or_b32 exec_lo, exec_lo, s1
	global_wb scope:SCOPE_SE
	s_wait_dscnt 0x0
	s_barrier_signal -1
	s_barrier_wait -1
	global_inv scope:SCOPE_SE
	ds_load_2addr_b32 v[47:48], v57 offset1:150
	ds_load_2addr_b32 v[53:54], v50 offset0:44 offset1:194
	ds_load_2addr_b32 v[49:50], v51 offset0:88 offset1:238
	;; [unrolled: 1-line block ×4, first 2 shown]
	ds_load_b32 v205, v57 offset:6000
	v_lshrrev_b32_e32 v29, 16, v85
	s_and_saveexec_b32 s1, vcc_lo
	s_cbranch_execz .LBB0_15
; %bb.14:
	v_add_nc_u32_e32 v27, 0x100, v57
	v_add_nc_u32_e32 v28, 0x600, v57
	;; [unrolled: 1-line block ×3, first 2 shown]
	ds_load_2addr_b32 v[45:46], v27 offset0:46 offset1:196
	v_add_nc_u32_e32 v27, 0xf00, v57
	ds_load_2addr_b32 v[43:44], v28 offset0:26 offset1:176
	v_add_nc_u32_e32 v28, 0x1400, v57
	ds_load_2addr_b32 v[41:42], v29 offset0:70 offset1:220
	ds_load_2addr_b32 v[29:30], v27 offset0:50 offset1:200
	;; [unrolled: 1-line block ×3, first 2 shown]
	ds_load_b32 v81, v57 offset:6440
	s_wait_dscnt 0x5
	v_lshrrev_b32_e32 v157, 16, v45
	v_lshrrev_b32_e32 v159, 16, v46
	s_wait_dscnt 0x4
	v_lshrrev_b32_e32 v156, 16, v43
	v_lshrrev_b32_e32 v158, 16, v44
	;; [unrolled: 3-line block ×5, first 2 shown]
	s_wait_dscnt 0x0
	v_bfi_b32 v42, 0xffff, v42, v81
.LBB0_15:
	s_wait_alu 0xfffe
	s_or_b32 exec_lo, exec_lo, s1
	s_delay_alu instid0(VALU_DEP_1)
	v_lshrrev_b32_e32 v179, 16, v42
	v_sub_f16_e64 v167, v46, v81
	v_add_f16_e64 v164, v81, v46
	v_sub_f16_e64 v166, v43, v28
	v_sub_f16_e64 v194, v156, v82
	;; [unrolled: 1-line block ×3, first 2 shown]
	v_add_f16_e64 v200, v179, v159
	v_mul_f16_e64 v177, 0xbbeb, v167
	v_add_f16_e64 v165, v28, v43
	v_add_f16_e64 v199, v82, v156
	v_mul_f16_e64 v173, 0xbbeb, v195
	v_mul_f16_e64 v181, 0xba0c, v195
	;; [unrolled: 1-line block ×4, first 2 shown]
	v_fma_f16 v162, v200, 0xb08e, -v177
	v_fma_f16 v161, 0xb08e, v164, v173
	v_fma_f16 v169, 0xb93d, v164, v181
	v_mul_f16_e64 v178, 0x3482, v166
	v_fma_f16 v163, v200, 0xb93d, -v185
	v_fma_f16 v168, 0xbbad, v165, v172
	v_add_f16_e64 v161, v45, v161
	v_add_f16_e64 v162, v157, v162
	v_add_f16_e64 v170, v45, v169
	v_fma_f16 v171, v199, 0xbbad, -v178
	v_sub_f16_e64 v197, v158, v83
	v_sub_f16_e64 v169, v44, v27
	v_mul_f16_e64 v188, 0x3beb, v166
	v_add_f16_e64 v163, v157, v163
	v_add_f16_e64 v161, v168, v161
	v_mul_f16_e64 v183, 0x3beb, v194
	v_add_f16_e64 v168, v27, v44
	v_add_f16_e64 v201, v83, v158
	v_mul_f16_e64 v174, 0x3b47, v197
	v_mul_f16_e64 v182, 0x3b47, v169
	v_add_f16_e64 v162, v171, v162
	v_fma_f16 v171, v199, 0xb08e, -v188
	s_wait_dscnt 0x5
	v_pk_add_f16 v160, v47, v48
	v_fma_f16 v175, 0xb08e, v165, v183
	v_fma_f16 v176, 0x36a6, v168, v174
	v_fma_f16 v180, v201, 0x36a6, -v182
	v_mul_f16_e64 v186, 0xb853, v197
	v_add_f16_e64 v163, v171, v163
	v_sub_f16_e64 v198, v131, v84
	v_sub_f16_e64 v171, v41, v30
	v_mul_f16_e64 v191, 0xb853, v169
	v_add_f16_e64 v175, v175, v170
	v_add_f16_e64 v161, v176, v161
	;; [unrolled: 1-line block ×3, first 2 shown]
	v_fma_f16 v176, 0x3abb, v168, v186
	v_add_f16_e64 v170, v30, v41
	v_mul_f16_e64 v180, 0xb853, v198
	v_add_f16_e64 v203, v84, v131
	v_mul_f16_e64 v184, 0xb853, v171
	v_fma_f16 v187, v201, 0x3abb, -v191
	v_mul_f16_e64 v189, 0xb482, v198
	s_wait_dscnt 0x4
	v_pk_add_f16 v160, v160, v53
	v_fma_f16 v190, 0x3abb, v170, v180
	v_add_f16_e64 v175, v176, v175
	v_fma_f16 v176, v203, 0x3abb, -v184
	v_add_f16_e64 v163, v187, v163
	v_fma_f16 v187, 0xbbad, v170, v189
	v_mul_f16_e64 v192, 0xb482, v171
	v_sub_f16_e64 v202, v85, v86
	v_pk_add_f16 v160, v160, v54
	v_add_f16_e64 v161, v190, v161
	v_add_f16_e64 v162, v176, v162
	;; [unrolled: 1-line block ×3, first 2 shown]
	v_fma_f16 v190, v203, 0xbbad, -v192
	v_add_f16_e64 v175, v29, v42
	v_sub_f16_e64 v176, v42, v29
	v_mul_f16_e64 v187, 0xba0c, v202
	s_wait_dscnt 0x3
	v_pk_add_f16 v160, v160, v49
	v_add_f16_e64 v163, v190, v163
	v_add_f16_e64 v204, v86, v85
	v_mul_f16_e64 v190, 0xba0c, v176
	v_fma_f16 v207, 0xb93d, v175, v187
	v_mul_f16_e64 v193, 0x3b47, v202
	v_pk_add_f16 v208, v160, v50
	v_mul_f16_e64 v196, 0x3b47, v176
	v_fma_f16 v209, v204, 0xb93d, -v190
	v_add_f16_e64 v160, v207, v161
	v_fma_f16 v207, 0x36a6, v175, v193
	s_wait_dscnt 0x2
	v_pk_add_f16 v208, v208, v51
	v_fma_f16 v210, v204, 0x36a6, -v196
	v_add_f16_e64 v161, v209, v162
	s_wait_dscnt 0x0
	v_pk_add_f16 v209, v48, v205 neg_lo:[0,1] neg_hi:[0,1]
	v_add_f16_e64 v162, v207, v206
	v_pk_add_f16 v206, v208, v52
	v_pk_add_f16 v48, v205, v48
	v_pk_add_f16 v221, v53, v56 neg_lo:[0,1] neg_hi:[0,1]
	v_pk_mul_f16 v207, 0xb853, v209 op_sel_hi:[0,1]
	v_lshrrev_b32_e32 v208, 16, v209
	v_pk_add_f16 v206, v206, v55
	v_add_f16_e64 v163, v210, v163
	v_lshrrev_b32_e32 v212, 16, v48
	v_pk_fma_f16 v210, 0x3abb, v48, v207 op_sel:[0,0,1] op_sel_hi:[0,1,0]
	v_pk_fma_f16 v207, 0x3abb, v48, v207 op_sel:[0,0,1] op_sel_hi:[0,1,0] neg_lo:[0,0,1] neg_hi:[0,0,1]
	v_mul_f16_e64 v211, 0xbb47, v208
	v_pk_add_f16 v206, v206, v56
	v_pk_add_f16 v53, v56, v53
	v_pk_mul_f16 v56, 0xbb47, v221 op_sel_hi:[0,1]
	v_lshrrev_b32_e32 v224, 16, v221
	v_bfi_b32 v213, 0xffff, v210, v207
	v_fma_f16 v214, 0x36a6, v48, v211
	v_mul_f16_e64 v215, 0x36a6, v212
	v_mul_f16_e64 v218, 0xb08e, v212
	;; [unrolled: 1-line block ×3, first 2 shown]
	v_pk_fma_f16 v225, 0x36a6, v53, v56 op_sel:[0,0,1] op_sel_hi:[0,1,0]
	v_pk_fma_f16 v56, 0x36a6, v53, v56 op_sel:[0,0,1] op_sel_hi:[0,1,0] neg_lo:[0,0,1] neg_hi:[0,0,1]
	v_mul_f16_e64 v226, 0xba0c, v224
	v_lshrrev_b32_e32 v227, 16, v53
	v_pk_add_f16 v205, v206, v205
	v_pk_add_f16 v206, v47, v213
	v_add_f16_e64 v213, v47, v214
	v_fma_f16 v214, 0x3b47, v209, v215
	v_lshrrev_b32_e32 v216, 16, v47
	v_mul_f16_e64 v217, 0xbbeb, v208
	v_fma_f16 v211, v48, 0x36a6, -v211
	v_fmac_f16_e64 v215, 0xbb47, v209
	v_fma_f16 v220, 0x3beb, v209, v218
	v_fmac_f16_e64 v218, 0xbbeb, v209
	v_fma_f16 v223, 0x3a0c, v209, v212
	v_fmac_f16_e64 v212, 0xba0c, v209
	v_bfi_b32 v228, 0xffff, v225, v56
	v_fma_f16 v229, 0xb93d, v53, v226
	v_mul_f16_e64 v230, 0xb93d, v227
	v_add_f16_e64 v214, v216, v214
	v_fma_f16 v219, 0xb08e, v48, v217
	v_add_f16_e64 v211, v47, v211
	v_add_f16_e64 v215, v216, v215
	v_fma_f16 v217, v48, 0xb08e, -v217
	v_add_f16_e64 v220, v216, v220
	v_add_f16_e64 v218, v216, v218
	;; [unrolled: 1-line block ×4, first 2 shown]
	v_pk_add_f16 v206, v228, v206
	v_add_f16_e64 v213, v229, v213
	v_fma_f16 v216, 0x3a0c, v221, v230
	v_mul_f16_e64 v228, 0x3482, v224
	v_mul_f16_e64 v229, 0xbbad, v227
	v_fma_f16 v226, v53, 0xb93d, -v226
	v_add_f16_e64 v219, v47, v219
	v_mul_f16_e64 v208, 0xba0c, v208
	v_add_f16_e64 v217, v47, v217
	v_add_f16_e64 v214, v216, v214
	v_fma_f16 v216, 0xbbad, v53, v228
	v_fma_f16 v231, 0xb482, v221, v229
	v_add_f16_e64 v211, v226, v211
	v_fma_f16 v226, v53, 0xbbad, -v228
	v_fma_f16 v222, 0xb93d, v48, v208
	v_fmac_f16_e64 v230, 0xba0c, v221
	v_add_f16_e64 v216, v216, v219
	v_add_f16_e64 v219, v231, v220
	v_mul_f16_e64 v220, 0x3beb, v224
	v_add_f16_e64 v217, v226, v217
	v_pk_add_f16 v226, v54, v55 neg_lo:[0,1] neg_hi:[0,1]
	v_pk_add_f16 v54, v55, v54
	v_add_f16_e64 v222, v47, v222
	v_fma_f16 v208, v48, 0xb93d, -v208
	v_add_f16_e64 v215, v230, v215
	v_mul_f16_e64 v224, 0xb08e, v227
	v_fmac_f16_e64 v229, 0x3482, v221
	v_fma_f16 v227, 0xb08e, v53, v220
	v_pk_mul_f16 v55, 0xbbeb, v226 op_sel_hi:[0,1]
	v_lshrrev_b32_e32 v230, 16, v54
	v_add_f16_e64 v208, v47, v208
	v_fma_f16 v228, 0xbbeb, v221, v224
	v_add_f16_e64 v218, v229, v218
	v_lshrrev_b32_e32 v229, 16, v226
	v_add_f16_e64 v222, v227, v222
	v_pk_fma_f16 v227, 0xb08e, v54, v55 op_sel:[0,0,1] op_sel_hi:[0,1,0]
	v_pk_fma_f16 v55, 0xb08e, v54, v55 op_sel:[0,0,1] op_sel_hi:[0,1,0] neg_lo:[0,0,1] neg_hi:[0,0,1]
	v_fma_f16 v220, v53, 0xb08e, -v220
	v_fmac_f16_e64 v224, 0x3beb, v221
	v_mul_f16_e64 v233, 0xbbad, v230
	v_add_f16_e64 v223, v228, v223
	v_mul_f16_e64 v228, 0x3482, v229
	v_bfi_b32 v231, 0xffff, v227, v55
	v_add_f16_e64 v208, v220, v208
	v_add_f16_e64 v212, v224, v212
	v_fma_f16 v220, 0xb482, v226, v233
	v_mul_f16_e64 v224, 0x3b47, v229
	v_fma_f16 v232, 0xbbad, v54, v228
	v_pk_add_f16 v206, v231, v206
	v_mul_f16_e64 v231, 0x36a6, v230
	v_add_f16_e64 v214, v220, v214
	v_fma_f16 v220, 0x36a6, v54, v224
	v_fma_f16 v224, v54, 0x36a6, -v224
	v_add_f16_e64 v213, v232, v213
	v_fma_f16 v228, v54, 0xbbad, -v228
	v_fma_f16 v232, 0xbb47, v226, v231
	v_add_f16_e64 v216, v220, v216
	v_mul_f16_e64 v220, 0xb853, v229
	v_add_f16_e64 v217, v224, v217
	v_pk_add_f16 v224, v49, v52 neg_lo:[0,1] neg_hi:[0,1]
	v_pk_add_f16 v49, v52, v49
	v_add_f16_e64 v211, v228, v211
	v_add_f16_e64 v219, v232, v219
	v_mul_f16_e64 v228, 0x3abb, v230
	v_fmac_f16_e64 v231, 0x3b47, v226
	v_fma_f16 v229, 0x3abb, v54, v220
	v_pk_mul_f16 v52, 0xba0c, v224 op_sel_hi:[0,1]
	v_lshrrev_b32_e32 v232, 16, v49
	v_fmac_f16_e64 v233, 0x3482, v226
	v_fma_f16 v230, 0x3853, v226, v228
	v_add_f16_e64 v218, v231, v218
	v_lshrrev_b32_e32 v231, 16, v224
	v_add_f16_e64 v222, v229, v222
	v_pk_fma_f16 v229, 0xb93d, v49, v52 op_sel:[0,0,1] op_sel_hi:[0,1,0]
	v_pk_fma_f16 v52, 0xb93d, v49, v52 op_sel:[0,0,1] op_sel_hi:[0,1,0] neg_lo:[0,0,1] neg_hi:[0,0,1]
	v_fma_f16 v220, v54, 0x3abb, -v220
	v_fmac_f16_e64 v228, 0xb853, v226
	v_mul_f16_e64 v235, 0xb08e, v232
	v_add_f16_e64 v215, v233, v215
	v_add_f16_e64 v223, v230, v223
	v_mul_f16_e64 v230, 0x3beb, v231
	v_bfi_b32 v233, 0xffff, v229, v52
	v_add_f16_e64 v208, v220, v208
	v_add_f16_e64 v212, v228, v212
	v_fma_f16 v220, 0xbbeb, v224, v235
	v_mul_f16_e64 v228, 0xb853, v231
	v_fma_f16 v234, 0xb08e, v49, v230
	v_pk_add_f16 v206, v233, v206
	v_mul_f16_e64 v233, 0x3abb, v232
	v_fma_f16 v230, v49, 0xb08e, -v230
	v_add_f16_e64 v214, v220, v214
	v_fma_f16 v220, 0x3abb, v49, v228
	v_fma_f16 v228, v49, 0x3abb, -v228
	v_add_f16_e64 v213, v234, v213
	v_fma_f16 v234, 0x3853, v224, v233
	v_add_f16_e64 v211, v230, v211
	v_add_f16_e64 v216, v220, v216
	v_mul_f16_e64 v220, 0xb482, v231
	v_mul_f16_e64 v230, 0xbbad, v232
	v_add_f16_e64 v217, v228, v217
	v_pk_add_f16 v228, v50, v51 neg_lo:[0,1] neg_hi:[0,1]
	v_fmac_f16_e64 v233, 0xb853, v224
	v_fma_f16 v231, 0xbbad, v49, v220
	v_fma_f16 v232, 0x3482, v224, v230
	v_pk_add_f16 v50, v51, v50
	v_pk_mul_f16 v51, 0xb482, v228 op_sel_hi:[0,1]
	v_add_f16_e64 v218, v233, v218
	v_lshrrev_b32_e32 v233, 16, v228
	v_fmac_f16_e64 v235, 0x3beb, v224
	v_add_f16_e64 v219, v234, v219
	v_add_f16_e64 v222, v231, v222
	;; [unrolled: 1-line block ×3, first 2 shown]
	v_pk_fma_f16 v231, 0xbbad, v50, v51 op_sel:[0,0,1] op_sel_hi:[0,1,0]
	v_pk_fma_f16 v51, 0xbbad, v50, v51 op_sel:[0,0,1] op_sel_hi:[0,1,0] neg_lo:[0,0,1] neg_hi:[0,0,1]
	v_mul_f16_e64 v232, 0x3853, v233
	v_fma_f16 v220, v49, 0xbbad, -v220
	v_lshrrev_b32_e32 v234, 16, v50
	v_add_f16_e64 v215, v235, v215
	v_fmac_f16_e64 v230, 0xb482, v224
	v_bfi_b32 v235, 0xffff, v231, v51
	v_fma_f16 v236, 0x3abb, v50, v232
	v_add_f16_e64 v208, v220, v208
	v_mul_f16_e64 v220, 0x3abb, v234
	v_add_f16_e64 v212, v230, v212
	v_pk_add_f16 v206, v235, v206
	v_add_f16_e64 v213, v236, v213
	v_mul_f16_e64 v230, 0xba0c, v233
	v_fma_f16 v235, 0xb853, v228, v220
	v_fma_f16 v232, v50, 0x3abb, -v232
	v_fmac_f16_e64 v220, 0x3853, v228
	v_mul_f16_e64 v236, 0xb93d, v234
	v_fma_f16 v237, 0xb93d, v50, v230
	v_fma_f16 v230, v50, 0xb93d, -v230
	v_add_f16_e64 v211, v232, v211
	v_add_f16_e64 v215, v220, v215
	v_fma_f16 v220, 0x3a0c, v228, v236
	v_mul_f16_e64 v232, 0x3b47, v233
	v_add_f16_e64 v217, v230, v217
	v_pk_mul_f16 v48, 0xbbad, v48 op_sel_hi:[0,1]
	v_pk_mul_f16 v53, 0x3abb, v53 op_sel_hi:[0,1]
	v_add_f16_e64 v219, v220, v219
	v_mul_f16_e64 v220, 0x36a6, v234
	v_fma_f16 v230, 0x36a6, v50, v232
	v_add_f16_e64 v214, v235, v214
	v_add_f16_e64 v216, v237, v216
	v_pk_mul_f16 v54, 0xb93d, v54 op_sel_hi:[0,1]
	v_fma_f16 v233, 0xbb47, v228, v220
	v_fmac_f16_e64 v220, 0x3b47, v228
	v_add_f16_e64 v222, v230, v222
	v_pk_fma_f16 v230, 0xb482, v209, v48 op_sel:[0,0,1] op_sel_hi:[0,1,0]
	v_pk_fma_f16 v48, 0xb482, v209, v48 op_sel:[0,0,1] op_sel_hi:[0,1,0] neg_lo:[0,1,0] neg_hi:[0,1,0]
	v_pk_fma_f16 v209, 0x3853, v221, v53 op_sel:[0,0,1] op_sel_hi:[0,1,0]
	v_add_f16_e64 v212, v220, v212
	v_pack_b32_f16 v216, v216, v219
	v_alignbit_b32 v220, s0, v230, 16
	v_pack_b32_f16 v213, v213, v214
	v_alignbit_b32 v219, s0, v47, 16
	v_pk_add_f16 v48, v47, v48 op_sel:[1,0] op_sel_hi:[0,1]
	v_pk_fma_f16 v53, 0x3853, v221, v53 op_sel:[0,0,1] op_sel_hi:[0,1,0] neg_lo:[0,1,0] neg_hi:[0,1,0]
	v_pk_add_f16 v214, v47, v220
	v_alignbit_b32 v220, s0, v209, 16
	v_pk_fma_f16 v221, 0xba0c, v226, v54 op_sel:[0,0,1] op_sel_hi:[0,1,0]
	v_pk_mul_f16 v49, 0x36a6, v49 op_sel_hi:[0,1]
	v_pk_add_f16 v219, v219, v230
	v_pk_add_f16 v48, v53, v48
	;; [unrolled: 1-line block ×3, first 2 shown]
	v_alignbit_b32 v53, s0, v221, 16
	v_pk_fma_f16 v54, 0xba0c, v226, v54 op_sel:[0,0,1] op_sel_hi:[0,1,0] neg_lo:[0,1,0] neg_hi:[0,1,0]
	v_pk_fma_f16 v220, 0x3b47, v224, v49 op_sel:[0,0,1] op_sel_hi:[0,1,0]
	v_bfi_b32 v207, 0xffff, v207, v210
	v_fma_f16 v232, v50, 0x36a6, -v232
	v_pk_add_f16 v209, v209, v219
	v_pk_add_f16 v53, v53, v214
	;; [unrolled: 1-line block ×3, first 2 shown]
	v_alignbit_b32 v54, s0, v220, 16
	v_pk_mul_f16 v50, 0xb08e, v50 op_sel_hi:[0,1]
	v_pk_add_f16 v47, v47, v207
	v_bfi_b32 v56, 0xffff, v56, v225
	v_pk_add_f16 v207, v221, v209
	v_pk_fma_f16 v49, 0x3b47, v224, v49 op_sel:[0,0,1] op_sel_hi:[0,1,0] neg_lo:[0,1,0] neg_hi:[0,1,0]
	v_pk_add_f16 v53, v54, v53
	v_pk_fma_f16 v54, 0xbbeb, v228, v50 op_sel:[0,0,1] op_sel_hi:[0,1,0]
	v_pk_add_f16 v47, v56, v47
	v_bfi_b32 v55, 0xffff, v55, v227
	v_pk_add_f16 v48, v49, v48
	v_pk_fma_f16 v49, 0xbbeb, v228, v50 op_sel:[0,0,1] op_sel_hi:[0,1,0] neg_lo:[0,1,0] neg_hi:[0,1,0]
	v_pk_add_f16 v50, v220, v207
	v_alignbit_b32 v56, s0, v54, 16
	v_fmac_f16_e64 v236, 0xba0c, v228
	v_pk_add_f16 v47, v55, v47
	v_bfi_b32 v52, 0xffff, v52, v229
	v_add_f16_e64 v223, v233, v223
	v_pk_add_f16 v48, v49, v48
	v_pk_add_f16 v49, v54, v50
	;; [unrolled: 1-line block ×3, first 2 shown]
	v_add_f16_e64 v218, v236, v218
	v_add_f16_e64 v208, v232, v208
	v_pk_add_f16 v47, v52, v47
	v_bfi_b32 v51, 0xffff, v51, v231
	v_pack_b32_f16 v53, v222, v223
	v_alignbit_b32 v49, v49, v48, 16
	v_pack_b32_f16 v48, v50, v48
	v_pack_b32_f16 v50, v217, v218
	;; [unrolled: 1-line block ×3, first 2 shown]
	global_wb scope:SCOPE_SE
	s_barrier_signal -1
	s_barrier_wait -1
	global_inv scope:SCOPE_SE
	v_pk_add_f16 v47, v51, v47
	v_pack_b32_f16 v51, v211, v215
	ds_store_2addr_b32 v105, v205, v206 offset1:1
	ds_store_2addr_b32 v105, v213, v216 offset0:2 offset1:3
	ds_store_b32 v105, v53 offset:16
	ds_store_2addr_b32 v105, v48, v49 offset0:5 offset1:6
	ds_store_2addr_b32 v105, v52, v50 offset0:7 offset1:8
	;; [unrolled: 1-line block ×3, first 2 shown]
	s_and_saveexec_b32 s1, vcc_lo
	s_cbranch_execz .LBB0_17
; %bb.16:
	v_mul_f16_e64 v54, 0xbbad, v200
	v_mul_f16_e64 v207, 0x3abb, v199
	;; [unrolled: 1-line block ×5, first 2 shown]
	v_fma_f16 v206, 0x3482, v167, v54
	v_fma_f16 v211, 0xb853, v166, v207
	v_mul_f16_e64 v224, 0x36a6, v200
	v_mul_f16_e64 v227, 0xb93d, v199
	;; [unrolled: 1-line block ×3, first 2 shown]
	v_add_f16_e64 v206, v157, v206
	v_mul_f16_e64 v232, 0xb08e, v203
	v_mul_f16_e64 v234, 0x3abb, v204
	v_fma_f16 v229, 0x3a0c, v166, v227
	v_mul_f16_e64 v48, 0xb08e, v200
	v_add_f16_e64 v206, v211, v206
	v_fma_f16 v211, 0x3a0c, v169, v212
	v_mul_f16_e64 v50, 0xb93d, v200
	v_mul_f16_e64 v200, 0x3abb, v200
	;; [unrolled: 1-line block ×4, first 2 shown]
	v_add_f16_e64 v206, v211, v206
	v_fma_f16 v211, 0xbb47, v171, v216
	v_mul_f16_e64 v199, 0x36a6, v199
	v_mul_f16_e64 v105, 0x36a6, v201
	;; [unrolled: 1-line block ×4, first 2 shown]
	v_add_f16_e64 v206, v211, v206
	v_fma_f16 v211, 0x3beb, v176, v220
	v_fma_f16 v239, 0x3b47, v166, v199
	v_mul_f16_e64 v210, 0x3abb, v203
	v_mul_f16_e64 v214, 0xbbad, v203
	;; [unrolled: 1-line block ×3, first 2 shown]
	v_add_f16_e64 v206, v211, v206
	v_fma_f16 v211, 0x3b47, v167, v224
	v_add_f16_e32 v46, v46, v45
	v_mul_f16_e64 v219, 0xb482, v195
	v_mul_f16_e64 v233, 0xbb47, v195
	;; [unrolled: 1-line block ×3, first 2 shown]
	v_add_f16_e64 v211, v157, v211
	v_add_f16_e32 v43, v43, v46
	v_add_f16_e64 v46, v159, v157
	v_mul_f16_e64 v223, 0x3853, v194
	v_mul_f16_e64 v235, 0xba0c, v194
	v_add_f16_e64 v211, v229, v211
	v_fma_f16 v229, 0xb482, v169, v230
	v_mul_f16_e64 v194, 0xbb47, v194
	v_add_f16_e32 v43, v44, v43
	v_add_f16_e64 v44, v156, v46
	v_mul_f16_e64 v217, 0xb93d, v204
	v_add_f16_e64 v211, v229, v211
	v_fma_f16 v229, 0xbbeb, v171, v232
	v_mul_f16_e64 v221, 0x36a6, v204
	v_mul_f16_e64 v46, 0xbbad, v204
	v_fma_f16 v204, 0x36a6, v165, v194
	v_add_f16_e32 v41, v41, v43
	v_add_f16_e64 v211, v229, v211
	v_fma_f16 v229, 0xb853, v176, v234
	v_add_f16_e64 v43, v158, v44
	v_mul_f16_e64 v44, 0xbbeb, v197
	v_add_f16_e32 v41, v42, v41
	v_fmac_f16_e64 v54, 0xb482, v167
	v_add_f16_e64 v211, v229, v211
	v_fma_f16 v229, 0x3853, v167, v200
	v_add_f16_e64 v42, v131, v43
	v_fma_f16 v43, 0xb08e, v168, v44
	v_mul_f16_e64 v131, 0xba0c, v198
	v_add_f16_e32 v29, v29, v41
	v_add_f16_e64 v229, v157, v229
	v_add_f16_e32 v41, v85, v42
	v_mul_f16_e64 v85, 0xb482, v202
	v_fmac_f16_e64 v207, 0x3853, v166
	v_add_f16_e32 v29, v30, v29
	v_add_f16_e64 v229, v239, v229
	v_fma_f16 v239, 0x3beb, v169, v201
	v_add_f16_e32 v30, v86, v41
	v_mul_f16_e64 v226, 0xba0c, v197
	v_add_f16_e32 v27, v27, v29
	v_mul_f16_e64 v228, 0x3b47, v198
	v_add_f16_e64 v229, v239, v229
	v_fma_f16 v239, 0x3a0c, v171, v203
	v_add_f16_e32 v29, v84, v30
	v_add_f16_e64 v30, v157, v54
	v_add_f16_e32 v27, v28, v27
	v_mul_f16_e64 v49, 0xb93d, v164
	v_add_f16_e64 v159, v239, v229
	v_fma_f16 v229, 0x3abb, v164, v195
	v_add_f16_e32 v28, v83, v29
	v_add_f16_e64 v29, v207, v30
	v_mul_f16_e64 v231, 0xbbeb, v202
	v_mul_f16_e64 v53, 0xb08e, v165
	v_add_f16_e64 v156, v45, v229
	v_sub_f16_e64 v49, v49, v181
	v_fma_f16 v222, 0xbbad, v164, v219
	v_mul_f16_e64 v205, 0x3abb, v168
	v_sub_f16_e64 v53, v53, v183
	v_add_f16_e64 v156, v204, v156
	v_add_f16_e32 v49, v45, v49
	v_add_f16_e64 v222, v45, v222
	v_fma_f16 v225, 0x3abb, v165, v223
	v_mul_f16_e64 v213, 0xbbad, v170
	v_add_f16_e64 v42, v43, v156
	v_fma_f16 v43, 0xb93d, v170, v131
	v_add_f16_e32 v49, v53, v49
	v_add_f16_e64 v52, v178, v52
	v_add_f16_e64 v222, v225, v222
	v_fma_f16 v225, 0xb93d, v168, v226
	v_add_f16_e32 v41, v43, v42
	v_fma_f16 v42, 0xbbad, v175, v85
	v_add_f16_e64 v43, v185, v50
	v_add_f16_e64 v50, v188, v55
	v_mul_f16_e64 v51, 0xbbad, v165
	v_fmac_f16_e64 v224, 0xbb47, v167
	v_add_f16_e32 v41, v42, v41
	v_fma_f16 v42, v164, 0xbbad, -v219
	v_add_f16_e64 v43, v157, v43
	v_add_f16_e64 v222, v225, v222
	v_fma_f16 v225, 0x36a6, v170, v228
	v_fmac_f16_e64 v227, 0xba0c, v166
	v_add_f16_e32 v30, v45, v42
	v_fma_f16 v42, v165, 0x3abb, -v223
	v_add_f16_e32 v43, v50, v43
	v_add_f16_e64 v50, v191, v208
	v_mul_f16_e64 v218, 0x36a6, v175
	v_add_f16_e64 v222, v225, v222
	v_add_f16_e32 v30, v42, v30
	v_fma_f16 v42, v168, 0xb93d, -v226
	v_add_f16_e32 v43, v50, v43
	v_sub_f16_e64 v50, v205, v186
	v_fma_f16 v225, 0xb08e, v175, v231
	v_mul_f16_e64 v47, 0xb08e, v164
	v_add_f16_e32 v30, v42, v30
	v_fma_f16 v42, v170, 0x36a6, -v228
	v_add_f16_e32 v49, v50, v49
	v_sub_f16_e64 v50, v213, v189
	v_add_f16_e64 v222, v225, v222
	v_fma_f16 v225, 0x36a6, v164, v233
	v_add_f16_e32 v30, v42, v30
	v_fma_f16 v42, v175, 0xb08e, -v231
	v_sub_f16_e64 v47, v47, v173
	v_fmac_f16_e64 v200, 0xb853, v167
	v_add_f16_e64 v225, v45, v225
	v_fma_f16 v236, 0xb93d, v165, v235
	v_add_f16_e32 v30, v42, v30
	v_add_f16_e64 v42, v177, v48
	v_add_f16_e64 v48, v192, v214
	v_mul_f16_e64 v237, 0x3482, v197
	v_mul_f16_e64 v56, 0x36a6, v168
	v_add_f16_e32 v47, v45, v47
	v_add_f16_e64 v42, v157, v42
	v_add_f16_e32 v43, v48, v43
	v_add_f16_e64 v48, v196, v221
	v_fma_f16 v53, v165, 0xb93d, -v235
	v_add_f16_e64 v54, v157, v200
	v_add_f16_e32 v42, v52, v42
	v_add_f16_e64 v52, v182, v105
	v_add_f16_e32 v43, v48, v43
	v_add_f16_e32 v48, v50, v49
	v_sub_f16_e64 v49, v51, v172
	v_add_f16_e64 v50, v184, v210
	v_add_f16_e32 v42, v52, v42
	v_add_f16_e64 v51, v157, v224
	v_sub_f16_e64 v52, v218, v193
	v_fmac_f16_e64 v199, 0xbb47, v166
	v_add_f16_e64 v225, v236, v225
	v_add_f16_e32 v42, v50, v42
	v_add_f16_e64 v50, v227, v51
	v_add_f16_e64 v51, v190, v217
	v_add_f16_e32 v48, v52, v48
	v_fma_f16 v52, v164, 0x3abb, -v195
	v_fma_f16 v236, 0xbbad, v168, v237
	v_mul_f16_e64 v238, 0x3beb, v198
	v_add_f16_e32 v42, v51, v42
	v_fma_f16 v51, v164, 0x36a6, -v233
	v_fmac_f16_e64 v212, 0xba0c, v169
	v_mul_f16_e64 v209, 0x3abb, v170
	v_add_f16_e32 v47, v49, v47
	v_sub_f16_e64 v49, v56, v174
	v_add_f16_e32 v51, v45, v51
	v_add_f16_e32 v45, v45, v52
	v_fma_f16 v52, v165, 0x36a6, -v194
	v_fmac_f16_e64 v230, 0x3482, v169
	v_add_f16_e64 v54, v199, v54
	v_add_f16_e32 v51, v53, v51
	v_fma_f16 v53, v168, 0xbbad, -v237
	v_fmac_f16_e64 v201, 0xbbeb, v169
	v_add_f16_e32 v45, v52, v45
	v_fma_f16 v44, v168, 0xb08e, -v44
	v_add_f16_e64 v225, v236, v225
	v_fma_f16 v236, 0xb08e, v170, v238
	v_mul_f16_e64 v240, 0x3853, v202
	v_add_f16_e64 v29, v212, v29
	v_fmac_f16_e64 v216, 0x3b47, v171
	v_mul_f16_e64 v215, 0xb93d, v175
	v_add_f16_e32 v47, v49, v47
	v_sub_f16_e64 v49, v209, v180
	v_add_f16_e64 v50, v230, v50
	v_fmac_f16_e64 v232, 0x3beb, v171
	v_add_f16_e32 v51, v53, v51
	v_fma_f16 v52, v170, 0xb08e, -v238
	v_fma_f16 v158, 0x3482, v176, v46
	v_add_f16_e32 v28, v82, v28
	v_add_f16_e64 v53, v201, v54
	v_fmac_f16_e64 v203, 0xba0c, v171
	v_add_f16_e32 v44, v44, v45
	v_fma_f16 v45, v170, 0xb93d, -v131
	v_add_f16_e64 v225, v236, v225
	v_fma_f16 v236, 0x3abb, v175, v240
	v_add_f16_e64 v29, v216, v29
	v_fmac_f16_e64 v220, 0xbbeb, v176
	v_add_f16_e32 v47, v49, v47
	v_sub_f16_e64 v49, v215, v187
	v_add_f16_e64 v50, v232, v50
	v_fmac_f16_e64 v234, 0x3853, v176
	v_add_f16_e32 v51, v52, v51
	v_fma_f16 v52, v175, 0x3abb, -v240
	v_add_f16_e64 v158, v158, v159
	v_add_f16_e32 v27, v81, v27
	v_add_f16_e64 v28, v179, v28
	v_add_f16_e64 v53, v203, v53
	v_fmac_f16_e64 v46, 0xb482, v176
	v_add_f16_e32 v44, v45, v44
	v_fma_f16 v45, v175, 0xbbad, -v85
	v_add_f16_e64 v225, v236, v225
	v_add_f16_e64 v29, v220, v29
	v_add_f16_e32 v47, v49, v47
	v_add_f16_e64 v49, v234, v50
	v_add_f16_e32 v50, v52, v51
	v_add_f16_e32 v46, v46, v53
	;; [unrolled: 1-line block ×3, first 2 shown]
	v_lshlrev_b32_e32 v45, 2, v87
	v_pack_b32_f16 v41, v41, v158
	v_pack_b32_f16 v27, v27, v28
	;; [unrolled: 1-line block ×3, first 2 shown]
	v_perm_b32 v51, v161, v160, 0x5040100
	v_pack_b32_f16 v52, v222, v206
	v_perm_b32 v53, v163, v162, 0x5040100
	v_pack_b32_f16 v43, v48, v43
	v_pack_b32_f16 v29, v30, v29
	;; [unrolled: 1-line block ×5, first 2 shown]
	ds_store_2addr_b32 v45, v27, v41 offset1:1
	ds_store_2addr_b32 v45, v28, v51 offset0:2 offset1:3
	ds_store_2addr_b32 v45, v53, v52 offset0:4 offset1:5
	;; [unrolled: 1-line block ×4, first 2 shown]
	ds_store_b32 v45, v44 offset:40
.LBB0_17:
	s_wait_alu 0xfffe
	s_or_b32 exec_lo, exec_lo, s1
	v_add_nc_u32_e32 v29, 0xe00, v57
	v_add_nc_u32_e32 v27, 0xa00, v57
	;; [unrolled: 1-line block ×6, first 2 shown]
	global_wb scope:SCOPE_SE
	s_wait_dscnt 0x0
	s_barrier_signal -1
	s_barrier_wait -1
	global_inv scope:SCOPE_SE
	ds_load_2addr_b32 v[43:44], v57 offset1:110
	ds_load_2addr_b32 v[27:28], v27 offset0:20 offset1:185
	ds_load_2addr_b32 v[49:50], v29 offset0:39 offset1:149
	;; [unrolled: 1-line block ×6, first 2 shown]
	s_and_saveexec_b32 s1, s0
	s_cbranch_execz .LBB0_19
; %bb.18:
	ds_load_b32 v160, v57 offset:3080
	ds_load_b32 v162, v57 offset:6380
	s_wait_dscnt 0x1
	v_lshrrev_b32_e32 v161, 16, v160
	s_wait_dscnt 0x0
	v_lshrrev_b32_e32 v163, 16, v162
.LBB0_19:
	s_wait_alu 0xfffe
	s_or_b32 exec_lo, exec_lo, s1
	s_wait_dscnt 0x5
	v_lshrrev_b32_e32 v52, 16, v28
	s_wait_dscnt 0x4
	v_lshrrev_b32_e32 v54, 16, v49
	;; [unrolled: 2-line block ×3, first 2 shown]
	v_mul_f16_e32 v105, v112, v28
	v_lshrrev_b32_e32 v56, 16, v50
	v_mul_f16_e32 v87, v112, v52
	v_mul_f16_e64 v131, v111, v54
	v_lshrrev_b32_e32 v84, 16, v48
	s_wait_dscnt 0x0
	v_lshrrev_b32_e32 v156, 16, v46
	v_lshrrev_b32_e32 v86, 16, v45
	v_fmac_f16_e32 v87, v96, v28
	v_fma_f16 v28, v96, v52, -v105
	v_mul_f16_e32 v52, v111, v49
	v_mul_f16_e32 v105, v109, v82
	v_fmac_f16_e64 v131, v95, v49
	v_mul_f16_e32 v49, v110, v56
	v_mul_f16_e32 v96, v110, v50
	v_fma_f16 v52, v95, v54, -v52
	v_mul_f16_e32 v54, v109, v47
	v_fmac_f16_e32 v105, v93, v47
	v_mul_f16_e32 v47, v108, v84
	v_fmac_f16_e32 v49, v94, v50
	v_fma_f16 v50, v94, v56, -v96
	v_mul_f16_e32 v56, v108, v48
	v_lshrrev_b32_e32 v51, 16, v43
	v_fmac_f16_e32 v47, v91, v48
	v_mul_f16_e64 v48, v106, v156
	v_lshrrev_b32_e32 v53, 16, v44
	v_fma_f16 v54, v93, v82, -v54
	v_mul_f16_e32 v82, v107, v86
	v_mul_f16_e32 v93, v107, v45
	v_fma_f16 v56, v91, v84, -v56
	v_mul_f16_e32 v84, v106, v46
	v_lshrrev_b32_e32 v55, 16, v41
	v_fmac_f16_e32 v48, v89, v46
	v_sub_f16_e32 v46, v43, v87
	v_sub_f16_e32 v28, v51, v28
	v_lshrrev_b32_e32 v81, 16, v42
	v_fmac_f16_e32 v82, v90, v45
	v_fma_f16 v45, v90, v86, -v93
	v_sub_f16_e64 v86, v44, v131
	v_sub_f16_e32 v52, v53, v52
	v_lshrrev_b32_e32 v83, 16, v29
	v_lshrrev_b32_e32 v85, 16, v30
	;; [unrolled: 1-line block ×3, first 2 shown]
	v_fma_f16 v84, v89, v156, -v84
	v_fma_f16 v43, v43, 2.0, -v46
	v_fma_f16 v51, v51, 2.0, -v28
	v_sub_f16_e32 v49, v41, v49
	v_sub_f16_e32 v50, v55, v50
	v_fma_f16 v44, v44, 2.0, -v86
	v_fma_f16 v53, v53, 2.0, -v52
	v_sub_f16_e32 v87, v42, v105
	v_sub_f16_e32 v54, v81, v54
	;; [unrolled: 1-line block ×8, first 2 shown]
	v_fma_f16 v41, v41, 2.0, -v49
	v_fma_f16 v55, v55, 2.0, -v50
	v_pack_b32_f16 v43, v43, v51
	v_pack_b32_f16 v28, v46, v28
	v_fma_f16 v42, v42, 2.0, -v87
	v_fma_f16 v81, v81, 2.0, -v54
	v_pack_b32_f16 v44, v44, v53
	v_pack_b32_f16 v46, v86, v52
	v_fma_f16 v29, v29, 2.0, -v47
	v_fma_f16 v83, v83, 2.0, -v56
	;; [unrolled: 1-line block ×6, first 2 shown]
	global_wb scope:SCOPE_SE
	s_barrier_signal -1
	s_barrier_wait -1
	global_inv scope:SCOPE_SE
	ds_store_2addr_b32 v103, v43, v28 offset1:11
	ds_store_2addr_b32 v104, v44, v46 offset1:11
	v_pack_b32_f16 v28, v41, v55
	v_pack_b32_f16 v41, v49, v50
	v_pack_b32_f16 v42, v42, v81
	v_pack_b32_f16 v43, v87, v54
	v_pack_b32_f16 v29, v29, v83
	v_pack_b32_f16 v44, v47, v56
	v_pack_b32_f16 v30, v30, v85
	v_pack_b32_f16 v45, v82, v45
	v_pack_b32_f16 v27, v27, v89
	v_pack_b32_f16 v46, v48, v84
	ds_store_2addr_b32 v97, v28, v41 offset1:11
	ds_store_2addr_b32 v98, v42, v43 offset1:11
	;; [unrolled: 1-line block ×5, first 2 shown]
	s_and_saveexec_b32 s1, s0
	s_cbranch_execz .LBB0_21
; %bb.20:
	v_mul_f16_e64 v27, v102, v163
	v_mul_f16_e64 v28, v102, v162
	v_and_b32_e32 v29, 0xffff, v92
	s_delay_alu instid0(VALU_DEP_3) | instskip(NEXT) | instid1(VALU_DEP_3)
	v_fmac_f16_e64 v27, v88, v162
	v_fma_f16 v28, v88, v163, -v28
	s_delay_alu instid0(VALU_DEP_3) | instskip(NEXT) | instid1(VALU_DEP_3)
	v_lshlrev_b32_e32 v29, 2, v29
	v_sub_f16_e64 v27, v160, v27
	s_delay_alu instid0(VALU_DEP_3) | instskip(NEXT) | instid1(VALU_DEP_2)
	v_sub_f16_e64 v28, v161, v28
	v_fma_f16 v30, v160, 2.0, -v27
	s_delay_alu instid0(VALU_DEP_2) | instskip(SKIP_1) | instid1(VALU_DEP_2)
	v_fma_f16 v41, v161, 2.0, -v28
	v_pack_b32_f16 v27, v27, v28
	v_pack_b32_f16 v30, v30, v41
	ds_store_2addr_b32 v29, v30, v27 offset1:11
.LBB0_21:
	s_wait_alu 0xfffe
	s_or_b32 exec_lo, exec_lo, s1
	v_add_nc_u32_e32 v29, 0x600, v57
	v_add_nc_u32_e32 v30, 0x1000, v57
	global_wb scope:SCOPE_SE
	s_wait_dscnt 0x0
	s_barrier_signal -1
	s_barrier_wait -1
	global_inv scope:SCOPE_SE
	v_add_nc_u32_e32 v28, 0xa00, v57
	ds_load_2addr_b32 v[45:46], v29 offset0:56 offset1:166
	ds_load_2addr_b32 v[47:48], v30 offset0:76 offset1:186
	v_add_nc_u32_e32 v41, 0x200, v57
	v_add_nc_u32_e32 v27, 0x1400, v57
	ds_load_2addr_b32 v[49:50], v28 offset0:20 offset1:130
	v_add_nc_u32_e32 v42, 0xc00, v57
	ds_load_2addr_b32 v[43:44], v57 offset1:110
	ds_load_2addr_b32 v[51:52], v41 offset0:92 offset1:202
	ds_load_2addr_b32 v[53:54], v27 offset0:40 offset1:150
	;; [unrolled: 1-line block ×3, first 2 shown]
	ds_load_b32 v81, v57 offset:6160
	global_wb scope:SCOPE_SE
	s_wait_dscnt 0x0
	s_barrier_signal -1
	s_barrier_wait -1
	global_inv scope:SCOPE_SE
	s_mov_b32 s8, 0x3dc013dc
	s_mov_b32 s9, 0x3f43dc01
	v_lshrrev_b32_e32 v84, 16, v46
	v_lshrrev_b32_e32 v85, 16, v47
	v_mul_f16_e64 v97, v130, v46
	v_lshrrev_b32_e32 v87, 16, v48
	v_lshrrev_b32_e32 v86, 16, v49
	v_mul_f16_e64 v95, v130, v84
	v_mul_f16_e64 v99, v129, v85
	v_lshrrev_b32_e32 v89, 16, v50
	v_lshrrev_b32_e32 v90, 16, v53
	v_lshrrev_b32_e32 v92, 16, v55
	v_fmac_f16_e32 v95, v39, v46
	v_mul_f16_e64 v46, v129, v47
	v_fma_f16 v39, v39, v84, -v97
	v_mul_f16_e64 v84, v128, v86
	v_fmac_f16_e32 v99, v40, v47
	v_mul_f16_e64 v47, v128, v49
	v_fma_f16 v40, v40, v85, -v46
	v_mul_f16_e32 v46, v127, v87
	v_fmac_f16_e32 v84, v37, v49
	v_mul_f16_e32 v49, v127, v48
	v_fma_f16 v37, v37, v86, -v47
	v_mul_f16_e32 v47, v126, v89
	v_fmac_f16_e32 v46, v38, v48
	v_mul_f16_e32 v48, v126, v50
	v_fma_f16 v38, v38, v87, -v49
	v_mul_f16_e32 v49, v125, v90
	v_lshrrev_b32_e32 v93, 16, v54
	v_fmac_f16_e32 v47, v35, v50
	v_mul_f16_e32 v50, v125, v53
	v_lshrrev_b32_e32 v96, 16, v56
	v_fma_f16 v35, v35, v89, -v48
	v_mul_f16_e32 v48, v124, v92
	v_fmac_f16_e32 v49, v36, v53
	v_mul_f16_e32 v53, v124, v55
	v_fma_f16 v36, v36, v90, -v50
	v_mul_f16_e32 v50, v123, v93
	v_lshrrev_b32_e32 v98, 16, v81
	v_fmac_f16_e32 v48, v33, v55
	v_mul_f16_e32 v55, v123, v54
	v_fma_f16 v33, v33, v92, -v53
	v_mul_f16_e32 v53, v122, v96
	v_fmac_f16_e32 v50, v34, v54
	v_mul_f16_e32 v54, v122, v56
	v_fma_f16 v34, v34, v93, -v55
	v_mul_f16_e32 v55, v121, v98
	v_fmac_f16_e32 v53, v31, v56
	v_mul_f16_e32 v56, v121, v81
	v_lshrrev_b32_e32 v82, 16, v43
	v_fma_f16 v31, v31, v96, -v54
	v_add_f16_e32 v54, v95, v99
	v_fmac_f16_e32 v55, v32, v81
	v_fma_f16 v32, v32, v98, -v56
	v_add_f16_e32 v56, v39, v40
	v_add_f16_e32 v81, v43, v95
	v_fma_f16 v43, -0.5, v54, v43
	v_sub_f16_e32 v54, v39, v40
	v_add_f16_e32 v39, v82, v39
	v_fmac_f16_e32 v82, -0.5, v56
	v_sub_f16_e32 v56, v95, v99
	v_lshrrev_b32_e32 v83, 16, v44
	v_fmamk_f16 v85, v54, 0xbaee, v43
	v_add_f16_e32 v39, v39, v40
	v_add_f16_e32 v40, v84, v46
	v_fmac_f16_e32 v43, 0x3aee, v54
	v_fmamk_f16 v54, v56, 0x3aee, v82
	v_add_f16_e32 v86, v44, v84
	v_fmac_f16_e32 v82, 0xbaee, v56
	v_add_f16_e32 v56, v37, v38
	v_fmac_f16_e32 v44, -0.5, v40
	v_sub_f16_e32 v40, v37, v38
	v_add_f16_e32 v37, v83, v37
	v_add_f16_e32 v86, v86, v46
	v_fmac_f16_e32 v83, -0.5, v56
	v_sub_f16_e32 v46, v84, v46
	v_lshrrev_b32_e32 v88, 16, v51
	v_add_f16_e32 v37, v37, v38
	v_add_f16_e32 v38, v47, v49
	v_fmamk_f16 v56, v40, 0xbaee, v44
	v_fmac_f16_e32 v44, 0x3aee, v40
	v_fmamk_f16 v40, v46, 0x3aee, v83
	v_fmac_f16_e32 v83, 0xbaee, v46
	v_add_f16_e32 v46, v35, v36
	v_add_f16_e32 v84, v51, v47
	v_fma_f16 v38, -0.5, v38, v51
	v_sub_f16_e32 v51, v35, v36
	v_add_f16_e32 v35, v88, v35
	v_fmac_f16_e32 v88, -0.5, v46
	v_sub_f16_e32 v46, v47, v49
	v_lshrrev_b32_e32 v91, 16, v52
	v_add_f16_e32 v84, v84, v49
	v_add_f16_e32 v35, v35, v36
	;; [unrolled: 1-line block ×3, first 2 shown]
	v_fmamk_f16 v49, v46, 0x3aee, v88
	v_fmac_f16_e32 v88, 0xbaee, v46
	v_add_f16_e32 v46, v33, v34
	v_fmamk_f16 v47, v51, 0xbaee, v38
	v_fmac_f16_e32 v38, 0x3aee, v51
	v_add_f16_e32 v51, v52, v48
	v_fmac_f16_e32 v52, -0.5, v36
	v_sub_f16_e32 v36, v33, v34
	v_add_f16_e32 v33, v91, v33
	v_fmac_f16_e32 v91, -0.5, v46
	v_sub_f16_e32 v46, v48, v50
	v_lshrrev_b32_e32 v94, 16, v45
	v_fmamk_f16 v48, v36, 0xbaee, v52
	v_add_f16_e32 v33, v33, v34
	v_add_f16_e32 v34, v53, v55
	v_fmac_f16_e32 v52, 0x3aee, v36
	v_fmamk_f16 v36, v46, 0x3aee, v91
	v_fmac_f16_e32 v91, 0xbaee, v46
	v_add_f16_e32 v46, v31, v32
	v_add_f16_e32 v81, v81, v99
	;; [unrolled: 1-line block ×4, first 2 shown]
	v_fmac_f16_e32 v45, -0.5, v34
	v_sub_f16_e32 v34, v31, v32
	v_add_f16_e32 v31, v94, v31
	v_fmac_f16_e32 v94, -0.5, v46
	v_sub_f16_e32 v46, v53, v55
	v_pack_b32_f16 v43, v43, v82
	v_fmamk_f16 v53, v34, 0xbaee, v45
	v_fmac_f16_e32 v45, 0x3aee, v34
	v_pack_b32_f16 v34, v81, v39
	v_pack_b32_f16 v39, v85, v54
	;; [unrolled: 1-line block ×4, first 2 shown]
	v_add_f16_e32 v50, v50, v55
	v_add_f16_e32 v31, v31, v32
	v_fmamk_f16 v32, v46, 0x3aee, v94
	v_pack_b32_f16 v44, v44, v83
	v_fmac_f16_e32 v94, 0xbaee, v46
	v_pack_b32_f16 v35, v84, v35
	v_pack_b32_f16 v46, v47, v49
	ds_store_2addr_b32 v117, v34, v39 offset1:22
	ds_store_b32 v117, v43 offset:176
	ds_store_2addr_b32 v116, v37, v40 offset1:22
	ds_store_b32 v116, v44 offset:176
	ds_store_2addr_b32 v115, v35, v46 offset1:22
	v_pack_b32_f16 v34, v38, v88
	v_pack_b32_f16 v33, v51, v33
	v_pack_b32_f16 v35, v48, v36
	v_pack_b32_f16 v36, v52, v91
	v_pack_b32_f16 v31, v50, v31
	v_pack_b32_f16 v32, v53, v32
	v_pack_b32_f16 v37, v45, v94
	ds_store_b32 v115, v34 offset:176
	ds_store_2addr_b32 v114, v33, v35 offset1:22
	ds_store_b32 v114, v36 offset:176
	ds_store_2addr_b32 v113, v31, v32 offset1:22
	ds_store_b32 v113, v37 offset:176
	global_wb scope:SCOPE_SE
	s_wait_dscnt 0x0
	s_barrier_signal -1
	s_barrier_wait -1
	global_inv scope:SCOPE_SE
	ds_load_2addr_b32 v[31:32], v57 offset1:110
	ds_load_2addr_b32 v[33:34], v41 offset0:92 offset1:202
	ds_load_2addr_b32 v[35:36], v28 offset0:20 offset1:130
	;; [unrolled: 1-line block ×6, first 2 shown]
	ds_load_b32 v47, v57 offset:6160
	global_wb scope:SCOPE_SE
	s_wait_dscnt 0x0
	s_barrier_signal -1
	s_barrier_wait -1
	global_inv scope:SCOPE_SE
	v_lshrrev_b32_e32 v48, 16, v31
	v_lshrrev_b32_e32 v49, 16, v34
	;; [unrolled: 1-line block ×6, first 2 shown]
	v_mul_f16_e64 v87, v143, v49
	v_lshrrev_b32_e32 v55, 16, v36
	v_mul_f16_e64 v88, v143, v34
	v_mul_f16_e64 v89, v142, v50
	;; [unrolled: 1-line block ×4, first 2 shown]
	v_fmac_f16_e32 v87, v8, v34
	v_mul_f16_e64 v34, v141, v38
	v_lshrrev_b32_e32 v56, 16, v45
	v_lshrrev_b32_e32 v81, 16, v40
	v_fma_f16 v8, v8, v49, -v88
	v_fmac_f16_e32 v89, v9, v35
	v_fma_f16 v9, v9, v50, -v90
	v_fmac_f16_e32 v91, v10, v38
	v_mul_f16_e64 v35, v140, v52
	v_mul_f16_e64 v38, v140, v39
	;; [unrolled: 1-line block ×4, first 2 shown]
	v_fma_f16 v10, v10, v51, -v34
	v_mul_f16_e64 v34, v138, v55
	v_lshrrev_b32_e32 v83, 16, v44
	v_lshrrev_b32_e32 v84, 16, v37
	v_fmac_f16_e32 v35, v11, v39
	v_fma_f16 v11, v11, v52, -v38
	v_fmac_f16_e32 v49, v4, v43
	v_fma_f16 v4, v4, v54, -v50
	v_mul_f16_e64 v38, v138, v36
	v_mul_f16_e64 v39, v137, v56
	;; [unrolled: 1-line block ×4, first 2 shown]
	v_fmac_f16_e32 v34, v5, v36
	v_mul_f16_e64 v36, v136, v40
	v_lshrrev_b32_e32 v85, 16, v46
	v_fma_f16 v5, v5, v55, -v38
	v_fmac_f16_e32 v39, v6, v45
	v_fma_f16 v6, v6, v56, -v43
	v_fmac_f16_e32 v50, v7, v40
	v_mul_f16_e64 v38, v135, v83
	v_mul_f16_e64 v40, v135, v44
	;; [unrolled: 1-line block ×4, first 2 shown]
	v_fma_f16 v7, v7, v81, -v36
	v_add_f16_e32 v36, v89, v91
	v_lshrrev_b32_e32 v86, 16, v47
	v_fmac_f16_e32 v38, v0, v44
	v_fma_f16 v0, v0, v83, -v40
	v_fmac_f16_e32 v43, v1, v37
	v_fma_f16 v1, v1, v84, -v45
	v_mul_f16_e64 v37, v133, v85
	v_mul_f16_e64 v40, v133, v46
	v_add_f16_e32 v45, v31, v87
	v_fma_f16 v36, -0.5, v36, v31
	v_sub_f16_e32 v51, v8, v11
	v_mul_f16_e64 v44, v132, v86
	v_fmac_f16_e32 v37, v2, v46
	v_fma_f16 v2, v2, v85, -v40
	v_add_f16_e32 v40, v45, v89
	v_fmamk_f16 v45, v51, 0xbb9c, v36
	v_sub_f16_e32 v46, v9, v10
	v_sub_f16_e32 v52, v87, v89
	;; [unrolled: 1-line block ×3, first 2 shown]
	v_add_f16_e32 v55, v87, v35
	v_fmac_f16_e32 v36, 0x3b9c, v51
	v_fmac_f16_e32 v44, v3, v47
	v_mul_f16_e64 v47, v132, v47
	v_add_f16_e32 v40, v40, v91
	v_fmac_f16_e32 v45, 0xb8b4, v46
	v_add_f16_e32 v52, v52, v54
	v_fma_f16 v31, -0.5, v55, v31
	v_sub_f16_e32 v54, v89, v87
	v_sub_f16_e32 v55, v91, v35
	v_fmac_f16_e32 v36, 0x38b4, v46
	v_add_f16_e32 v56, v48, v8
	v_add_f16_e32 v81, v9, v10
	v_fma_f16 v3, v3, v86, -v47
	v_add_f16_e32 v40, v40, v35
	v_fmac_f16_e32 v45, 0x34f2, v52
	v_fmamk_f16 v47, v46, 0x3b9c, v31
	v_add_f16_e32 v54, v54, v55
	v_fmac_f16_e32 v31, 0xbb9c, v46
	v_add_f16_e32 v46, v56, v9
	v_fma_f16 v55, -0.5, v81, v48
	v_sub_f16_e32 v35, v87, v35
	v_fmac_f16_e32 v36, 0x34f2, v52
	v_add_f16_e32 v52, v8, v11
	v_sub_f16_e32 v81, v8, v9
	v_sub_f16_e32 v8, v9, v8
	;; [unrolled: 1-line block ×3, first 2 shown]
	v_fmac_f16_e32 v47, 0xb8b4, v51
	v_fmac_f16_e32 v31, 0x38b4, v51
	v_add_f16_e32 v46, v46, v10
	v_fmamk_f16 v51, v35, 0x3b9c, v55
	v_sub_f16_e32 v56, v89, v91
	v_sub_f16_e32 v83, v11, v10
	v_fmac_f16_e32 v48, -0.5, v52
	v_fmac_f16_e32 v55, 0xbb9c, v35
	v_add_f16_e32 v10, v34, v39
	v_add_f16_e32 v8, v8, v9
	;; [unrolled: 1-line block ×3, first 2 shown]
	v_lshrrev_b32_e32 v53, 16, v32
	v_fmac_f16_e32 v47, 0x34f2, v54
	v_fmac_f16_e32 v31, 0x34f2, v54
	v_add_f16_e32 v46, v46, v11
	v_fmac_f16_e32 v51, 0x38b4, v56
	v_add_f16_e32 v52, v81, v83
	v_fmamk_f16 v54, v56, 0xbb9c, v48
	v_fmac_f16_e32 v55, 0xb8b4, v56
	v_fma_f16 v10, -0.5, v10, v32
	v_sub_f16_e32 v11, v4, v7
	v_fmac_f16_e32 v48, 0x3b9c, v56
	v_add_f16_e32 v9, v9, v34
	v_sub_f16_e32 v81, v49, v34
	v_sub_f16_e32 v83, v50, v39
	v_add_f16_e32 v84, v49, v50
	v_fmac_f16_e32 v51, 0x34f2, v52
	v_fmac_f16_e32 v54, 0x38b4, v35
	;; [unrolled: 1-line block ×3, first 2 shown]
	v_fmamk_f16 v52, v11, 0xbb9c, v10
	v_sub_f16_e32 v56, v5, v6
	v_fmac_f16_e32 v48, 0xb8b4, v35
	v_add_f16_e32 v9, v9, v39
	v_add_f16_e32 v35, v81, v83
	v_fmac_f16_e32 v32, -0.5, v84
	v_fmac_f16_e32 v10, 0x3b9c, v11
	v_sub_f16_e32 v81, v34, v49
	v_sub_f16_e32 v83, v39, v50
	v_add_f16_e32 v84, v53, v4
	v_add_f16_e32 v85, v5, v6
	v_fmac_f16_e32 v54, 0x34f2, v8
	v_fmac_f16_e32 v52, 0xb8b4, v56
	;; [unrolled: 1-line block ×3, first 2 shown]
	v_add_f16_e32 v8, v9, v50
	v_fmamk_f16 v9, v56, 0x3b9c, v32
	v_fmac_f16_e32 v10, 0x38b4, v56
	v_add_f16_e32 v81, v81, v83
	v_fmac_f16_e32 v32, 0xbb9c, v56
	v_add_f16_e32 v56, v84, v5
	v_fma_f16 v83, -0.5, v85, v53
	v_sub_f16_e32 v49, v49, v50
	v_add_f16_e32 v50, v4, v7
	v_fmac_f16_e32 v52, 0x34f2, v35
	v_fmac_f16_e32 v9, 0xb8b4, v11
	;; [unrolled: 1-line block ×4, first 2 shown]
	v_add_f16_e32 v11, v56, v6
	v_fmamk_f16 v35, v49, 0x3b9c, v83
	v_sub_f16_e32 v34, v34, v39
	v_sub_f16_e32 v39, v4, v5
	;; [unrolled: 1-line block ×3, first 2 shown]
	v_fmac_f16_e32 v53, -0.5, v50
	v_fmac_f16_e32 v83, 0xbb9c, v49
	v_sub_f16_e32 v4, v5, v4
	v_sub_f16_e32 v5, v6, v7
	v_add_f16_e32 v6, v43, v37
	v_add_f16_e32 v11, v11, v7
	v_fmac_f16_e32 v35, 0x38b4, v34
	v_add_f16_e32 v39, v39, v56
	v_fmamk_f16 v50, v34, 0xbb9c, v53
	v_fmac_f16_e32 v83, 0xb8b4, v34
	v_add_f16_e32 v4, v4, v5
	v_fmac_f16_e32 v53, 0x3b9c, v34
	v_add_f16_e32 v5, v33, v38
	v_fma_f16 v6, -0.5, v6, v33
	v_sub_f16_e32 v7, v0, v3
	v_fmac_f16_e32 v9, 0x34f2, v81
	v_fmac_f16_e32 v32, 0x34f2, v81
	;; [unrolled: 1-line block ×6, first 2 shown]
	v_add_f16_e32 v5, v5, v43
	v_fmamk_f16 v34, v7, 0xbb9c, v6
	v_sub_f16_e32 v39, v1, v2
	v_sub_f16_e32 v49, v38, v43
	;; [unrolled: 1-line block ×3, first 2 shown]
	v_fmac_f16_e32 v6, 0x3b9c, v7
	v_add_f16_e32 v81, v38, v44
	v_lshrrev_b32_e32 v82, 16, v33
	v_add_f16_e32 v5, v5, v37
	v_fmac_f16_e32 v34, 0xb8b4, v39
	v_add_f16_e32 v49, v49, v56
	v_fmac_f16_e32 v6, 0x38b4, v39
	v_fmac_f16_e32 v33, -0.5, v81
	v_sub_f16_e32 v56, v43, v38
	v_sub_f16_e32 v81, v37, v44
	v_fmac_f16_e32 v50, 0x34f2, v4
	v_fmac_f16_e32 v53, 0x34f2, v4
	v_add_f16_e32 v4, v5, v44
	v_fmac_f16_e32 v34, 0x34f2, v49
	v_fmac_f16_e32 v6, 0x34f2, v49
	v_fmamk_f16 v5, v39, 0x3b9c, v33
	v_add_f16_e32 v49, v1, v2
	v_fmac_f16_e32 v33, 0xbb9c, v39
	v_sub_f16_e32 v38, v38, v44
	v_add_f16_e32 v44, v56, v81
	v_add_f16_e32 v56, v0, v3
	;; [unrolled: 1-line block ×3, first 2 shown]
	v_fma_f16 v49, -0.5, v49, v82
	v_fmac_f16_e32 v5, 0xb8b4, v7
	v_fmac_f16_e32 v33, 0x38b4, v7
	v_sub_f16_e32 v37, v43, v37
	v_fmac_f16_e32 v82, -0.5, v56
	v_add_f16_e32 v7, v39, v1
	v_fmamk_f16 v39, v38, 0x3b9c, v49
	v_fmac_f16_e32 v5, 0x34f2, v44
	v_fmac_f16_e32 v33, 0x34f2, v44
	v_sub_f16_e32 v43, v0, v1
	v_sub_f16_e32 v44, v3, v2
	v_fmac_f16_e32 v49, 0xbb9c, v38
	v_fmamk_f16 v56, v37, 0xbb9c, v82
	v_sub_f16_e32 v0, v1, v0
	v_sub_f16_e32 v1, v2, v3
	v_fmac_f16_e32 v82, 0x3b9c, v37
	v_add_f16_e32 v7, v7, v2
	v_fmac_f16_e32 v39, 0x38b4, v37
	v_add_f16_e32 v2, v43, v44
	v_fmac_f16_e32 v49, 0xb8b4, v37
	v_fmac_f16_e32 v56, 0x38b4, v38
	v_add_f16_e32 v0, v0, v1
	v_fmac_f16_e32 v82, 0xb8b4, v38
	v_fmac_f16_e32 v39, 0x34f2, v2
	;; [unrolled: 1-line block ×3, first 2 shown]
	v_pack_b32_f16 v2, v45, v51
	v_fmac_f16_e32 v56, 0x34f2, v0
	v_fmac_f16_e32 v82, 0x34f2, v0
	v_pack_b32_f16 v0, v40, v46
	v_add_f16_e32 v1, v7, v3
	v_pack_b32_f16 v3, v47, v54
	v_pack_b32_f16 v7, v31, v48
	v_pack_b32_f16 v31, v36, v55
	v_pack_b32_f16 v8, v8, v11
	v_pack_b32_f16 v11, v52, v35
	ds_store_2addr_b32 v120, v0, v2 offset1:66
	ds_store_2addr_b32 v120, v3, v7 offset0:132 offset1:198
	ds_store_b32 v120, v31 offset:1056
	ds_store_2addr_b32 v119, v8, v11 offset1:66
	v_pack_b32_f16 v0, v9, v50
	v_pack_b32_f16 v2, v32, v53
	;; [unrolled: 1-line block ×8, first 2 shown]
	ds_store_2addr_b32 v119, v0, v2 offset0:132 offset1:198
	ds_store_b32 v119, v3 offset:1056
	ds_store_2addr_b32 v118, v1, v4 offset1:66
	ds_store_2addr_b32 v118, v5, v7 offset0:132 offset1:198
	ds_store_b32 v118, v6 offset:1056
	global_wb scope:SCOPE_SE
	s_wait_dscnt 0x0
	s_barrier_signal -1
	s_barrier_wait -1
	global_inv scope:SCOPE_SE
	ds_load_2addr_b32 v[0:1], v57 offset1:110
	ds_load_2addr_b32 v[2:3], v41 offset0:92 offset1:202
	ds_load_2addr_b32 v[4:5], v28 offset0:20 offset1:130
	;; [unrolled: 1-line block ×6, first 2 shown]
	ds_load_b32 v33, v57 offset:6160
	s_wait_dscnt 0x7
	v_lshrrev_b32_e32 v34, 16, v0
	s_wait_dscnt 0x6
	v_lshrrev_b32_e32 v35, 16, v3
	;; [unrolled: 2-line block ×6, first 2 shown]
	v_mul_f16_e64 v51, v155, v35
	v_mul_f16_e64 v52, v155, v3
	;; [unrolled: 1-line block ×5, first 2 shown]
	v_lshrrev_b32_e32 v43, 16, v5
	s_wait_dscnt 0x1
	v_lshrrev_b32_e32 v44, 16, v31
	v_fmac_f16_e32 v51, v20, v3
	v_fma_f16 v3, v20, v35, -v52
	v_fmac_f16_e32 v53, v21, v4
	v_fma_f16 v4, v21, v36, -v54
	v_fmac_f16_e32 v55, v22, v7
	v_mul_f16_e64 v7, v153, v7
	v_mul_f16_e64 v20, v152, v38
	;; [unrolled: 1-line block ×5, first 2 shown]
	v_lshrrev_b32_e32 v45, 16, v9
	v_lshrrev_b32_e32 v47, 16, v11
	v_fma_f16 v7, v22, v37, -v7
	v_fmac_f16_e32 v20, v23, v8
	v_fma_f16 v8, v23, v38, -v21
	v_fmac_f16_e32 v35, v16, v10
	v_fma_f16 v10, v16, v40, -v36
	v_mul_f16_e64 v16, v150, v43
	v_mul_f16_e64 v21, v150, v5
	;; [unrolled: 1-line block ×4, first 2 shown]
	v_lshrrev_b32_e32 v48, 16, v6
	v_mul_f16_e64 v36, v148, v45
	v_fmac_f16_e32 v16, v17, v5
	v_fma_f16 v5, v17, v43, -v21
	v_fmac_f16_e32 v22, v18, v31
	v_fma_f16 v17, v18, v44, -v23
	v_mul_f16_e64 v18, v147, v47
	v_mul_f16_e64 v21, v147, v11
	v_lshrrev_b32_e32 v49, 16, v32
	v_fmac_f16_e32 v36, v19, v9
	v_mul_f16_e64 v9, v148, v9
	v_mul_f16_e64 v23, v146, v48
	;; [unrolled: 1-line block ×3, first 2 shown]
	v_fmac_f16_e32 v18, v12, v11
	v_fma_f16 v11, v12, v47, -v21
	v_add_f16_e32 v12, v53, v55
	s_wait_dscnt 0x0
	v_lshrrev_b32_e32 v50, 16, v33
	v_fma_f16 v9, v19, v45, -v9
	v_fmac_f16_e32 v23, v13, v6
	v_fma_f16 v6, v13, v48, -v31
	v_mul_f16_e64 v13, v145, v49
	v_mul_f16_e64 v19, v145, v32
	v_add_f16_e32 v31, v0, v51
	v_fma_f16 v12, -0.5, v12, v0
	v_sub_f16_e32 v37, v3, v8
	v_mul_f16_e64 v21, v144, v50
	v_fmac_f16_e32 v13, v14, v32
	v_fma_f16 v14, v14, v49, -v19
	v_add_f16_e32 v19, v31, v53
	v_fmamk_f16 v31, v37, 0xbb9c, v12
	v_sub_f16_e32 v32, v4, v7
	v_sub_f16_e32 v38, v51, v53
	;; [unrolled: 1-line block ×3, first 2 shown]
	v_add_f16_e32 v43, v51, v20
	v_fmac_f16_e32 v12, 0x3b9c, v37
	v_fmac_f16_e32 v21, v15, v33
	v_mul_f16_e64 v33, v144, v33
	v_add_f16_e32 v19, v19, v55
	v_fmac_f16_e32 v31, 0xb8b4, v32
	v_add_f16_e32 v38, v38, v40
	v_fma_f16 v0, -0.5, v43, v0
	v_sub_f16_e32 v40, v53, v51
	v_sub_f16_e32 v43, v55, v20
	v_fmac_f16_e32 v12, 0x38b4, v32
	v_add_f16_e32 v44, v34, v3
	v_add_f16_e32 v45, v4, v7
	v_fma_f16 v15, v15, v50, -v33
	v_add_f16_e32 v19, v19, v20
	v_fmac_f16_e32 v31, 0x34f2, v38
	v_fmamk_f16 v33, v32, 0x3b9c, v0
	v_add_f16_e32 v40, v40, v43
	v_fmac_f16_e32 v0, 0xbb9c, v32
	v_add_f16_e32 v32, v44, v4
	v_fma_f16 v43, -0.5, v45, v34
	v_sub_f16_e32 v20, v51, v20
	v_fmac_f16_e32 v12, 0x34f2, v38
	v_add_f16_e32 v38, v3, v8
	v_sub_f16_e32 v45, v3, v4
	v_sub_f16_e32 v3, v4, v3
	v_sub_f16_e32 v4, v7, v8
	v_fmac_f16_e32 v33, 0xb8b4, v37
	v_fmac_f16_e32 v0, 0x38b4, v37
	v_add_f16_e32 v32, v32, v7
	v_fmamk_f16 v37, v20, 0x3b9c, v43
	v_sub_f16_e32 v44, v53, v55
	v_sub_f16_e32 v47, v8, v7
	v_fmac_f16_e32 v34, -0.5, v38
	v_fmac_f16_e32 v43, 0xbb9c, v20
	v_add_f16_e32 v7, v16, v22
	v_add_f16_e32 v3, v3, v4
	;; [unrolled: 1-line block ×3, first 2 shown]
	v_lshrrev_b32_e32 v39, 16, v1
	v_fmac_f16_e32 v33, 0x34f2, v40
	v_fmac_f16_e32 v0, 0x34f2, v40
	v_add_f16_e32 v32, v32, v8
	v_fmac_f16_e32 v37, 0x38b4, v44
	v_add_f16_e32 v38, v45, v47
	v_fmamk_f16 v40, v44, 0xbb9c, v34
	v_fmac_f16_e32 v43, 0xb8b4, v44
	v_fma_f16 v7, -0.5, v7, v1
	v_sub_f16_e32 v8, v10, v9
	v_fmac_f16_e32 v34, 0x3b9c, v44
	v_add_f16_e32 v4, v4, v16
	v_add_f16_e32 v48, v35, v36
	v_fmac_f16_e32 v37, 0x34f2, v38
	v_fmac_f16_e32 v40, 0x38b4, v20
	;; [unrolled: 1-line block ×3, first 2 shown]
	v_fmamk_f16 v38, v8, 0xbb9c, v7
	v_sub_f16_e32 v44, v5, v17
	v_sub_f16_e32 v45, v35, v16
	;; [unrolled: 1-line block ×3, first 2 shown]
	v_fmac_f16_e32 v34, 0xb8b4, v20
	v_add_f16_e32 v4, v4, v22
	v_fmac_f16_e32 v1, -0.5, v48
	v_fmac_f16_e32 v7, 0x3b9c, v8
	v_add_f16_e32 v48, v39, v10
	v_fmac_f16_e32 v40, 0x34f2, v3
	v_fmac_f16_e32 v38, 0xb8b4, v44
	v_add_f16_e32 v20, v45, v47
	v_fmac_f16_e32 v34, 0x34f2, v3
	v_add_f16_e32 v3, v4, v36
	v_fmamk_f16 v4, v44, 0x3b9c, v1
	v_sub_f16_e32 v45, v16, v35
	v_sub_f16_e32 v47, v22, v36
	v_fmac_f16_e32 v7, 0x38b4, v44
	v_add_f16_e32 v49, v5, v17
	v_fmac_f16_e32 v1, 0xbb9c, v44
	v_add_f16_e32 v44, v48, v5
	;; [unrolled: 2-line block ×3, first 2 shown]
	v_fma_f16 v47, -0.5, v49, v39
	v_sub_f16_e32 v35, v35, v36
	v_fmac_f16_e32 v1, 0x38b4, v8
	v_add_f16_e32 v8, v44, v17
	v_add_f16_e32 v36, v10, v9
	v_fmac_f16_e32 v38, 0x34f2, v20
	v_fmac_f16_e32 v7, 0x34f2, v20
	v_fmamk_f16 v20, v35, 0x3b9c, v47
	v_sub_f16_e32 v16, v16, v22
	v_sub_f16_e32 v22, v10, v5
	;; [unrolled: 1-line block ×3, first 2 shown]
	v_fmac_f16_e32 v39, -0.5, v36
	v_add_f16_e32 v8, v8, v9
	v_fmac_f16_e32 v47, 0xbb9c, v35
	v_sub_f16_e32 v5, v5, v10
	v_sub_f16_e32 v9, v17, v9
	v_add_f16_e32 v10, v23, v13
	v_fmac_f16_e32 v20, 0x38b4, v16
	v_add_f16_e32 v22, v22, v44
	v_fmamk_f16 v36, v16, 0xbb9c, v39
	v_fmac_f16_e32 v47, 0xb8b4, v16
	v_add_f16_e32 v5, v5, v9
	v_fmac_f16_e32 v39, 0x3b9c, v16
	v_add_f16_e32 v9, v2, v18
	v_fma_f16 v10, -0.5, v10, v2
	v_sub_f16_e32 v16, v11, v15
	v_fmac_f16_e32 v4, 0x34f2, v45
	v_fmac_f16_e32 v1, 0x34f2, v45
	;; [unrolled: 1-line block ×6, first 2 shown]
	v_add_f16_e32 v9, v9, v23
	v_fmamk_f16 v17, v16, 0xbb9c, v10
	v_sub_f16_e32 v22, v6, v14
	v_sub_f16_e32 v35, v18, v23
	;; [unrolled: 1-line block ×3, first 2 shown]
	v_fmac_f16_e32 v10, 0x3b9c, v16
	v_add_f16_e32 v45, v18, v21
	v_lshrrev_b32_e32 v46, 16, v2
	v_add_f16_e32 v9, v9, v13
	v_fmac_f16_e32 v17, 0xb8b4, v22
	v_add_f16_e32 v35, v35, v44
	v_fmac_f16_e32 v10, 0x38b4, v22
	v_fmac_f16_e32 v2, -0.5, v45
	v_sub_f16_e32 v44, v23, v18
	v_sub_f16_e32 v45, v13, v21
	v_fmac_f16_e32 v36, 0x34f2, v5
	v_fmac_f16_e32 v39, 0x34f2, v5
	v_add_f16_e32 v5, v9, v21
	v_fmac_f16_e32 v17, 0x34f2, v35
	v_fmac_f16_e32 v10, 0x34f2, v35
	v_fmamk_f16 v9, v22, 0x3b9c, v2
	v_add_f16_e32 v35, v6, v14
	v_fmac_f16_e32 v2, 0xbb9c, v22
	v_sub_f16_e32 v18, v18, v21
	v_add_f16_e32 v21, v44, v45
	v_add_f16_e32 v44, v11, v15
	;; [unrolled: 1-line block ×3, first 2 shown]
	v_fma_f16 v35, -0.5, v35, v46
	v_fmac_f16_e32 v9, 0xb8b4, v16
	v_fmac_f16_e32 v2, 0x38b4, v16
	v_sub_f16_e32 v13, v23, v13
	v_fmac_f16_e32 v46, -0.5, v44
	v_add_f16_e32 v16, v22, v6
	v_fmamk_f16 v22, v18, 0x3b9c, v35
	v_fmac_f16_e32 v9, 0x34f2, v21
	v_fmac_f16_e32 v2, 0x34f2, v21
	v_sub_f16_e32 v21, v11, v6
	v_sub_f16_e32 v23, v15, v14
	v_fmac_f16_e32 v35, 0xbb9c, v18
	v_fmamk_f16 v44, v13, 0xbb9c, v46
	v_sub_f16_e32 v6, v6, v11
	v_sub_f16_e32 v11, v14, v15
	v_fmac_f16_e32 v46, 0x3b9c, v13
	v_add_f16_e32 v16, v16, v14
	v_fmac_f16_e32 v22, 0x38b4, v13
	v_add_f16_e32 v14, v21, v23
	v_fmac_f16_e32 v35, 0xb8b4, v13
	v_fmac_f16_e32 v44, 0x38b4, v18
	v_add_f16_e32 v6, v6, v11
	v_fmac_f16_e32 v46, 0xb8b4, v18
	v_add_f16_e32 v11, v16, v15
	v_fmac_f16_e32 v22, 0x34f2, v14
	v_fmac_f16_e32 v35, 0x34f2, v14
	v_pack_b32_f16 v14, v33, v40
	v_pack_b32_f16 v4, v4, v36
	v_fmac_f16_e32 v44, 0x34f2, v6
	v_fmac_f16_e32 v46, 0x34f2, v6
	v_pack_b32_f16 v6, v19, v32
	v_pack_b32_f16 v3, v3, v8
	;; [unrolled: 1-line block ×5, first 2 shown]
	ds_store_2addr_b32 v28, v14, v4 offset0:20 offset1:130
	v_pack_b32_f16 v4, v5, v11
	ds_store_2addr_b32 v57, v6, v3 offset1:110
	v_pack_b32_f16 v3, v38, v20
	v_pack_b32_f16 v5, v17, v22
	;; [unrolled: 1-line block ×6, first 2 shown]
	ds_store_2addr_b32 v27, v8, v7 offset0:40 offset1:150
	v_pack_b32_f16 v7, v10, v35
	ds_store_2addr_b32 v41, v4, v13 offset0:92 offset1:202
	ds_store_2addr_b32 v29, v3, v5 offset0:56 offset1:166
	;; [unrolled: 1-line block ×4, first 2 shown]
	ds_store_b32 v57, v7 offset:6160
	global_wb scope:SCOPE_SE
	s_wait_dscnt 0x0
	s_barrier_signal -1
	s_barrier_wait -1
	global_inv scope:SCOPE_SE
	ds_load_2addr_b32 v[0:1], v57 offset1:150
	s_wait_dscnt 0x0
	v_lshrrev_b32_e32 v4, 16, v0
	s_delay_alu instid0(VALU_DEP_1) | instskip(NEXT) | instid1(VALU_DEP_1)
	v_mul_f16_e32 v2, v80, v4
	v_fmac_f16_e32 v2, v78, v0
	v_mul_f16_e32 v0, v80, v0
	s_delay_alu instid0(VALU_DEP_2) | instskip(NEXT) | instid1(VALU_DEP_2)
	v_cvt_f32_f16_e32 v2, v2
	v_fma_f16 v0, v78, v4, -v0
	s_delay_alu instid0(VALU_DEP_2) | instskip(NEXT) | instid1(VALU_DEP_2)
	v_cvt_f64_f32_e32 v[2:3], v2
	v_cvt_f32_f16_e32 v0, v0
	s_delay_alu instid0(VALU_DEP_1) | instskip(SKIP_1) | instid1(VALU_DEP_3)
	v_cvt_f64_f32_e32 v[4:5], v0
	s_wait_alu 0xfffe
	v_mul_f64_e32 v[2:3], s[8:9], v[2:3]
	s_delay_alu instid0(VALU_DEP_2) | instskip(NEXT) | instid1(VALU_DEP_2)
	v_mul_f64_e32 v[4:5], s[8:9], v[4:5]
	v_and_or_b32 v0, 0x1ff, v3, v2
	v_lshrrev_b32_e32 v2, 16, v1
	v_lshrrev_b32_e32 v6, 8, v3
	v_bfe_u32 v8, v3, 20, 11
	s_delay_alu instid0(VALU_DEP_4) | instskip(NEXT) | instid1(VALU_DEP_4)
	v_cmp_ne_u32_e64 s0, 0, v0
	v_mul_f16_e32 v7, v79, v2
	v_and_or_b32 v4, 0x1ff, v5, v4
	v_lshrrev_b32_e32 v11, 8, v5
	v_bfe_u32 v13, v5, 20, 11
	s_wait_alu 0xf1ff
	v_cndmask_b32_e64 v0, 0, 1, s0
	v_fmac_f16_e32 v7, v76, v1
	v_cmp_ne_u32_e64 s0, 0, v4
	v_mul_f16_e32 v1, v79, v1
	v_add_nc_u32_e32 v14, 0xfffffc10, v8
	v_and_or_b32 v12, 0xffe, v6, v0
	v_sub_nc_u32_e32 v0, 0x3f1, v8
	v_cvt_f32_f16_e32 v6, v7
	s_wait_alu 0xf1ff
	v_cndmask_b32_e64 v4, 0, 1, s0
	v_fma_f16 v1, v76, v2, -v1
	v_or_b32_e32 v9, 0x1000, v12
	v_med3_i32 v0, v0, 0, 13
	v_cvt_f64_f32_e32 v[6:7], v6
	v_and_or_b32 v4, 0xffe, v11, v4
	v_sub_nc_u32_e32 v8, 0x3f1, v13
	v_lshl_or_b32 v2, v14, 12, v12
	v_lshrrev_b32_e32 v10, v0, v9
	v_cvt_f32_f16_e32 v1, v1
	v_add_nc_u32_e32 v18, 0xfffffc10, v13
	v_med3_i32 v11, v8, 0, 13
	v_lshrrev_b32_e32 v5, 16, v5
	v_lshlrev_b32_e32 v0, v0, v10
	s_delay_alu instid0(VALU_DEP_1) | instskip(SKIP_2) | instid1(VALU_DEP_2)
	v_cmp_ne_u32_e64 s0, v0, v9
	v_mad_co_u64_u32 v[8:9], null, s6, v26, 0
	s_wait_alu 0xf1ff
	v_cndmask_b32_e64 v0, 0, 1, s0
	v_cmp_gt_i32_e64 s0, 1, v14
	s_delay_alu instid0(VALU_DEP_2) | instskip(SKIP_2) | instid1(VALU_DEP_2)
	v_or_b32_e32 v0, v10, v0
	v_or_b32_e32 v10, 0x1000, v4
	s_wait_alu 0xf1ff
	v_cndmask_b32_e64 v2, v2, v0, s0
	v_cvt_f64_f32_e32 v[0:1], v1
	s_delay_alu instid0(VALU_DEP_3) | instskip(NEXT) | instid1(VALU_DEP_3)
	v_lshrrev_b32_e32 v15, v11, v10
	v_and_b32_e32 v16, 7, v2
	v_lshrrev_b32_e32 v2, 2, v2
	s_delay_alu instid0(VALU_DEP_3) | instskip(SKIP_1) | instid1(VALU_DEP_4)
	v_lshlrev_b32_e32 v11, v11, v15
	v_mul_f64_e32 v[6:7], s[8:9], v[6:7]
	v_cmp_lt_i32_e64 s0, 5, v16
	v_cmp_eq_u32_e64 s1, 3, v16
	v_add_nc_u32_e32 v16, 0x400, v57
	v_cmp_ne_u32_e64 s2, v11, v10
	s_delay_alu instid0(VALU_DEP_3)
	s_or_b32 s0, s1, s0
	ds_load_2addr_b32 v[10:11], v16 offset0:44 offset1:194
	s_wait_alu 0xfffe
	v_add_co_ci_u32_e64 v16, s0, 0, v2, s0
	v_cndmask_b32_e64 v17, 0, 1, s2
	v_cmp_ne_u32_e64 s0, 0, v12
	v_mov_b32_e32 v2, v9
	s_delay_alu instid0(VALU_DEP_3)
	v_or_b32_e32 v13, v15, v17
	v_lshl_or_b32 v15, v18, 12, v4
	s_wait_alu 0xf1ff
	v_cndmask_b32_e64 v12, 0, 1, s0
	v_cmp_gt_i32_e64 s0, 1, v18
	s_wait_alu 0xf1ff
	s_delay_alu instid0(VALU_DEP_1) | instskip(SKIP_1) | instid1(VALU_DEP_2)
	v_cndmask_b32_e64 v15, v15, v13, s0
	v_cmp_gt_i32_e64 s0, 31, v14
	v_and_b32_e32 v17, 7, v15
	s_wait_alu 0xf1ff
	s_delay_alu instid0(VALU_DEP_2)
	v_cndmask_b32_e64 v9, 0x7c00, v16, s0
	v_lshl_or_b32 v16, v12, 9, 0x7c00
	v_cmp_eq_u32_e64 s0, 0x40f, v14
	s_wait_dscnt 0x0
	v_lshrrev_b32_e32 v14, 16, v10
	v_mad_co_u64_u32 v[12:13], null, s7, v26, v[2:3]
	v_cmp_eq_u32_e64 s1, 3, v17
	s_wait_alu 0xf1ff
	v_cndmask_b32_e64 v2, v9, v16, s0
	v_cmp_lt_i32_e64 s0, 5, v17
	v_mul_f64_e32 v[0:1], s[8:9], v[0:1]
	v_mul_f16_e32 v13, v77, v14
	v_lshrrev_b32_e32 v9, 2, v15
	v_and_or_b32 v6, 0x1ff, v7, v6
	s_or_b32 s0, s1, s0
	v_lshrrev_b32_e32 v3, 16, v3
	v_fmac_f16_e32 v13, v74, v10
	s_wait_alu 0xfffe
	v_add_co_ci_u32_e64 v15, s0, 0, v9, s0
	v_mov_b32_e32 v9, v12
	v_cmp_gt_i32_e64 s0, 31, v18
	v_cvt_f32_f16_e32 v12, v13
	v_lshrrev_b32_e32 v17, 8, v7
	v_bfe_u32 v19, v7, 20, 11
	v_and_or_b32 v16, 0x8000, v3, v2
	s_wait_alu 0xf1ff
	v_cndmask_b32_e64 v15, 0x7c00, v15, s0
	v_cmp_ne_u32_e64 s0, 0, v4
	v_cvt_f64_f32_e32 v[12:13], v12
	v_mad_co_u64_u32 v[2:3], null, s4, v73, 0
	v_mul_f16_e32 v10, v77, v10
	s_wait_alu 0xf1ff
	v_cndmask_b32_e64 v4, 0, 1, s0
	v_cmp_ne_u32_e64 s0, 0, v6
	v_lshlrev_b64_e32 v[8:9], 2, v[8:9]
	v_lshrrev_b32_e32 v7, 16, v7
	s_mul_u64 s[6:7], s[4:5], 0x96
	v_lshl_or_b32 v4, v4, 9, 0x7c00
	v_cndmask_b32_e64 v6, 0, 1, s0
	v_cmp_eq_u32_e64 s0, 0x40f, v18
	v_add_nc_u32_e32 v18, 0xfffffc10, v19
	s_wait_alu 0xfffe
	s_lshl_b64 s[6:7], s[6:7], 2
	v_and_or_b32 v6, 0xffe, v17, v6
	v_sub_nc_u32_e32 v17, 0x3f1, v19
	v_cndmask_b32_e64 v15, v15, v4, s0
	v_mad_co_u64_u32 v[3:4], null, s5, v73, v[3:4]
	s_delay_alu instid0(VALU_DEP_4) | instskip(NEXT) | instid1(VALU_DEP_4)
	v_or_b32_e32 v4, 0x1000, v6
	v_med3_i32 v17, v17, 0, 13
	s_delay_alu instid0(VALU_DEP_4) | instskip(SKIP_2) | instid1(VALU_DEP_4)
	v_and_or_b32 v5, 0x8000, v5, v15
	v_and_b32_e32 v15, 0xffff, v16
	v_and_or_b32 v0, 0x1ff, v1, v0
	v_lshrrev_b32_e32 v16, v17, v4
	v_lshlrev_b64_e32 v[2:3], 2, v[2:3]
	s_delay_alu instid0(VALU_DEP_4)
	v_lshl_or_b32 v15, v5, 16, v15
	v_fma_f16 v5, v74, v14, -v10
	v_cmp_ne_u32_e64 s0, 0, v0
	v_lshlrev_b32_e32 v10, v17, v16
	v_lshrrev_b32_e32 v14, 8, v1
	v_bfe_u32 v17, v1, 20, 11
	v_cvt_f32_f16_e32 v5, v5
	s_wait_alu 0xf1ff
	v_cndmask_b32_e64 v0, 0, 1, s0
	v_cmp_ne_u32_e64 s0, v10, v4
	v_mul_f64_e32 v[12:13], s[8:9], v[12:13]
	v_cvt_f64_f32_e32 v[4:5], v5
	s_delay_alu instid0(VALU_DEP_4)
	v_and_or_b32 v0, 0xffe, v14, v0
	s_wait_alu 0xf1ff
	v_cndmask_b32_e64 v10, 0, 1, s0
	v_sub_nc_u32_e32 v14, 0x3f1, v17
	v_cmp_gt_i32_e64 s0, 1, v18
	v_or_b32_e32 v19, 0x1000, v0
	s_delay_alu instid0(VALU_DEP_4) | instskip(SKIP_3) | instid1(VALU_DEP_2)
	v_or_b32_e32 v10, v16, v10
	v_lshl_or_b32 v16, v18, 12, v6
	v_med3_i32 v14, v14, 0, 13
	s_wait_alu 0xf1ff
	v_cndmask_b32_e64 v10, v16, v10, s0
	v_add_co_u32 v8, s0, s10, v8
	s_delay_alu instid0(VALU_DEP_3)
	v_lshrrev_b32_e32 v16, v14, v19
	s_wait_alu 0xf1ff
	v_add_co_ci_u32_e64 v9, s0, s11, v9, s0
	v_and_b32_e32 v20, 7, v10
	v_add_co_u32 v2, s0, v8, v2
	v_lshlrev_b32_e32 v14, v14, v16
	s_wait_alu 0xf1ff
	v_add_co_ci_u32_e64 v3, s0, v9, v3, s0
	v_cmp_lt_i32_e64 s0, 5, v20
	v_cmp_eq_u32_e64 s1, 3, v20
	v_lshrrev_b32_e32 v8, 2, v10
	v_cmp_ne_u32_e64 s2, v14, v19
	v_add_nc_u32_e32 v10, 0xfffffc10, v17
	v_lshrrev_b32_e32 v14, 16, v11
	s_or_b32 s0, s1, s0
	global_store_b32 v[2:3], v15, off
	s_wait_alu 0xfffe
	v_add_co_ci_u32_e64 v8, s0, 0, v8, s0
	v_cndmask_b32_e64 v9, 0, 1, s2
	v_cmp_gt_i32_e64 s0, 31, v18
	v_lshl_or_b32 v17, v10, 12, v0
	v_mul_f64_e32 v[4:5], s[8:9], v[4:5]
	v_lshrrev_b32_e32 v20, 8, v13
	v_or_b32_e32 v9, v16, v9
	s_wait_alu 0xf1ff
	v_cndmask_b32_e64 v19, 0x7c00, v8, s0
	v_cmp_gt_i32_e64 s0, 1, v10
	v_mul_f16_e32 v16, v75, v14
	v_and_or_b32 v8, 0x1ff, v13, v12
	v_bfe_u32 v21, v13, 20, 11
	v_cmp_eq_u32_e64 s2, 0x40f, v18
	s_wait_alu 0xf1ff
	v_cndmask_b32_e64 v17, v17, v9, s0
	v_cmp_ne_u32_e64 s0, 0, v6
	v_fmac_f16_e32 v16, v71, v11
	v_mul_f16_e32 v11, v75, v11
	v_lshrrev_b32_e32 v13, 16, v13
	v_and_b32_e32 v12, 7, v17
	s_wait_alu 0xf1ff
	v_cndmask_b32_e64 v6, 0, 1, s0
	v_cmp_ne_u32_e64 s0, 0, v8
	v_cvt_f32_f16_e32 v9, v16
	v_lshrrev_b32_e32 v17, 2, v17
	v_cmp_eq_u32_e64 s1, 3, v12
	v_lshl_or_b32 v6, v6, 9, 0x7c00
	s_wait_alu 0xf1ff
	v_cndmask_b32_e64 v16, 0, 1, s0
	v_cvt_f64_f32_e32 v[8:9], v9
	v_cmp_lt_i32_e64 s0, 5, v12
	v_cndmask_b32_e64 v6, v19, v6, s2
	s_delay_alu instid0(VALU_DEP_4) | instskip(SKIP_1) | instid1(VALU_DEP_4)
	v_and_or_b32 v12, 0xffe, v20, v16
	v_sub_nc_u32_e32 v16, 0x3f1, v21
	s_or_b32 s0, s1, s0
	s_wait_alu 0xfffe
	v_add_co_ci_u32_e64 v17, s0, 0, v17, s0
	v_or_b32_e32 v18, 0x1000, v12
	v_med3_i32 v16, v16, 0, 13
	v_cmp_ne_u32_e64 s0, 0, v0
	v_and_or_b32 v20, 0x8000, v7, v6
	s_delay_alu instid0(VALU_DEP_3) | instskip(SKIP_1) | instid1(VALU_DEP_3)
	v_lshrrev_b32_e32 v19, v16, v18
	s_wait_alu 0xf1ff
	v_cndmask_b32_e64 v0, 0, 1, s0
	v_cmp_gt_i32_e64 s0, 31, v10
	v_and_or_b32 v4, 0x1ff, v5, v4
	v_lshlrev_b32_e32 v6, v16, v19
	s_delay_alu instid0(VALU_DEP_4)
	v_lshl_or_b32 v0, v0, 9, 0x7c00
	s_wait_alu 0xf1ff
	v_cndmask_b32_e64 v17, 0x7c00, v17, s0
	v_cmp_eq_u32_e64 s0, 0x40f, v10
	v_lshrrev_b32_e32 v16, 8, v5
	s_wait_alu 0xf1ff
	s_delay_alu instid0(VALU_DEP_2)
	v_cndmask_b32_e64 v10, v17, v0, s0
	v_cmp_ne_u32_e64 s0, v6, v18
	v_fma_f16 v0, v71, v14, -v11
	v_bfe_u32 v17, v5, 20, 11
	v_add_nc_u32_e32 v14, 0xfffffc10, v21
	v_lshrrev_b32_e32 v18, 16, v1
	s_wait_alu 0xf1ff
	v_cndmask_b32_e64 v11, 0, 1, s0
	v_cmp_ne_u32_e64 s0, 0, v4
	v_cvt_f32_f16_e32 v0, v0
	v_mul_f64_e32 v[8:9], s[8:9], v[8:9]
	v_and_or_b32 v10, 0x8000, v18, v10
	v_or_b32_e32 v1, v19, v11
	s_wait_alu 0xf1ff
	v_cndmask_b32_e64 v4, 0, 1, s0
	v_cvt_f64_f32_e32 v[6:7], v0
	v_sub_nc_u32_e32 v0, 0x3f1, v17
	v_lshl_or_b32 v11, v14, 12, v12
	v_cmp_gt_i32_e64 s0, 1, v14
	v_and_or_b32 v4, 0xffe, v16, v4
	v_add_nc_u32_e32 v16, 0x800, v57
	v_med3_i32 v21, v0, 0, 13
	v_and_b32_e32 v18, 0xffff, v20
	s_wait_alu 0xf1ff
	v_cndmask_b32_e64 v11, v11, v1, s0
	v_or_b32_e32 v19, 0x1000, v4
	ds_load_2addr_b32 v[0:1], v16 offset0:88 offset1:238
	v_lshl_or_b32 v18, v10, 16, v18
	v_and_b32_e32 v20, 7, v11
	v_lshrrev_b32_e32 v16, v21, v19
	v_lshrrev_b32_e32 v10, 2, v11
	s_delay_alu instid0(VALU_DEP_3) | instskip(NEXT) | instid1(VALU_DEP_3)
	v_cmp_lt_i32_e64 s0, 5, v20
	v_lshlrev_b32_e32 v15, v21, v16
	v_cmp_eq_u32_e64 s1, 3, v20
	s_delay_alu instid0(VALU_DEP_2) | instskip(NEXT) | instid1(VALU_DEP_2)
	v_cmp_ne_u32_e64 s2, v15, v19
	s_or_b32 s0, s1, s0
	v_add_nc_u32_e32 v15, 0xfffffc10, v17
	s_wait_alu 0xfffe
	v_add_co_ci_u32_e64 v10, s0, 0, v10, s0
	v_cndmask_b32_e64 v11, 0, 1, s2
	v_cmp_ne_u32_e64 s0, 0, v12
	s_wait_dscnt 0x0
	v_lshrrev_b32_e32 v17, 16, v0
	v_cmp_eq_u32_e64 s2, 0x40f, v14
	v_or_b32_e32 v11, v16, v11
	v_lshl_or_b32 v16, v15, 12, v4
	s_wait_alu 0xf1ff
	v_cndmask_b32_e64 v12, 0, 1, s0
	v_cmp_gt_i32_e64 s0, 1, v15
	v_mul_f64_e32 v[6:7], s[8:9], v[6:7]
	v_and_or_b32 v8, 0x1ff, v9, v8
	v_lshrrev_b32_e32 v20, 8, v9
	v_bfe_u32 v21, v9, 20, 11
	s_wait_alu 0xf1ff
	v_cndmask_b32_e64 v16, v16, v11, s0
	v_mul_f16_e32 v11, v72, v17
	v_cmp_gt_i32_e64 s0, 31, v14
	v_lshl_or_b32 v12, v12, 9, 0x7c00
	s_delay_alu instid0(VALU_DEP_4) | instskip(NEXT) | instid1(VALU_DEP_4)
	v_lshrrev_b32_e32 v14, 2, v16
	v_fmac_f16_e32 v11, v69, v0
	s_wait_alu 0xf1ff
	v_cndmask_b32_e64 v19, 0x7c00, v10, s0
	v_cmp_ne_u32_e64 s0, 0, v8
	v_and_b32_e32 v10, 7, v16
	v_mul_f16_e32 v0, v72, v0
	v_cvt_f32_f16_e32 v11, v11
	v_cndmask_b32_e64 v12, v19, v12, s2
	s_wait_alu 0xf1ff
	v_cndmask_b32_e64 v8, 0, 1, s0
	v_cmp_lt_i32_e64 s0, 5, v10
	v_cmp_eq_u32_e64 s1, 3, v10
	v_cvt_f64_f32_e32 v[10:11], v11
	v_and_or_b32 v12, 0x8000, v13, v12
	v_and_or_b32 v8, 0xffe, v20, v8
	v_sub_nc_u32_e32 v20, 0x3f1, v21
	s_or_b32 s0, s1, s0
	v_fma_f16 v0, v69, v17, -v0
	s_wait_alu 0xfffe
	v_add_co_ci_u32_e64 v14, s0, 0, v14, s0
	v_or_b32_e32 v16, 0x1000, v8
	v_med3_i32 v19, v20, 0, 13
	v_cmp_ne_u32_e64 s0, 0, v4
	v_cvt_f32_f16_e32 v0, v0
	v_add_nc_u32_e32 v17, 0xfffffc10, v21
	v_and_b32_e32 v12, 0xffff, v12
	v_lshrrev_b32_e32 v20, v19, v16
	s_wait_alu 0xf1ff
	v_cndmask_b32_e64 v4, 0, 1, s0
	v_cmp_gt_i32_e64 s0, 31, v15
	s_delay_alu instid0(VALU_DEP_3) | instskip(NEXT) | instid1(VALU_DEP_3)
	v_lshlrev_b32_e32 v13, v19, v20
	v_lshl_or_b32 v4, v4, 9, 0x7c00
	s_wait_alu 0xf1ff
	s_delay_alu instid0(VALU_DEP_3) | instskip(SKIP_3) | instid1(VALU_DEP_2)
	v_cndmask_b32_e64 v14, 0x7c00, v14, s0
	v_cmp_eq_u32_e64 s0, 0x40f, v15
	v_bfe_u32 v15, v7, 20, 11
	s_wait_alu 0xf1ff
	v_cndmask_b32_e64 v14, v14, v4, s0
	v_and_or_b32 v4, 0x1ff, v7, v6
	v_cmp_ne_u32_e64 s0, v13, v16
	v_lshrrev_b32_e32 v6, 16, v5
	v_lshrrev_b32_e32 v13, 8, v7
	s_wait_alu 0xf1ff
	s_delay_alu instid0(VALU_DEP_3) | instskip(SKIP_2) | instid1(VALU_DEP_3)
	v_cndmask_b32_e64 v5, 0, 1, s0
	v_cmp_ne_u32_e64 s0, 0, v4
	v_and_or_b32 v6, 0x8000, v6, v14
	v_or_b32_e32 v16, v20, v5
	s_wait_alu 0xf1ff
	s_delay_alu instid0(VALU_DEP_3) | instskip(SKIP_1) | instid1(VALU_DEP_2)
	v_cndmask_b32_e64 v4, 0, 1, s0
	v_cmp_gt_i32_e64 s0, 1, v17
	v_and_or_b32 v19, 0xffe, v13, v4
	v_mul_f64_e32 v[4:5], s[8:9], v[10:11]
	v_cvt_f64_f32_e32 v[10:11], v0
	v_sub_nc_u32_e32 v13, 0x3f1, v15
	v_lshl_or_b32 v0, v17, 12, v8
	v_or_b32_e32 v20, 0x1000, v19
	s_delay_alu instid0(VALU_DEP_3) | instskip(SKIP_1) | instid1(VALU_DEP_3)
	v_med3_i32 v13, v13, 0, 13
	s_wait_alu 0xf1ff
	v_cndmask_b32_e64 v0, v0, v16, s0
	v_add_co_u32 v2, s0, v2, s6
	s_wait_alu 0xf1ff
	v_add_co_ci_u32_e64 v3, s0, s7, v3, s0
	v_lshrrev_b32_e32 v14, v13, v20
	v_lshl_or_b32 v16, v6, 16, v12
	v_and_b32_e32 v6, 7, v0
	v_add_co_u32 v12, s0, v2, s6
	s_delay_alu instid0(VALU_DEP_4)
	v_lshlrev_b32_e32 v21, v13, v14
	s_wait_alu 0xf1ff
	v_add_co_ci_u32_e64 v13, s0, s7, v3, s0
	v_cmp_lt_i32_e64 s0, 5, v6
	v_cmp_eq_u32_e64 s1, 3, v6
	v_lshrrev_b32_e32 v0, 2, v0
	v_cmp_ne_u32_e64 s2, v21, v20
	v_lshrrev_b32_e32 v21, 16, v1
	v_add_nc_u32_e32 v20, 0xfffffc10, v15
	s_or_b32 s0, s1, s0
	s_wait_alu 0xfffe
	v_add_co_ci_u32_e64 v0, s0, 0, v0, s0
	v_cndmask_b32_e64 v6, 0, 1, s2
	v_cmp_ne_u32_e64 s0, 0, v8
	v_mul_f16_e32 v15, v70, v21
	s_delay_alu instid0(VALU_DEP_3)
	v_or_b32_e32 v6, v14, v6
	v_lshl_or_b32 v14, v20, 12, v19
	s_wait_alu 0xf1ff
	v_cndmask_b32_e64 v8, 0, 1, s0
	v_cmp_gt_i32_e64 s0, 1, v20
	v_fmac_f16_e32 v15, v68, v1
	v_and_or_b32 v4, 0x1ff, v5, v4
	v_mul_f64_e32 v[10:11], s[8:9], v[10:11]
	v_lshl_or_b32 v8, v8, 9, 0x7c00
	s_wait_alu 0xf1ff
	v_cndmask_b32_e64 v6, v14, v6, s0
	v_cmp_gt_i32_e64 s0, 31, v17
	v_cvt_f32_f16_e32 v14, v15
	v_lshrrev_b32_e32 v23, 8, v5
	v_bfe_u32 v26, v5, 20, 11
	v_and_b32_e32 v22, 7, v6
	s_wait_alu 0xf1ff
	v_cndmask_b32_e64 v0, 0x7c00, v0, s0
	v_cmp_ne_u32_e64 s0, 0, v4
	v_cvt_f64_f32_e32 v[14:15], v14
	v_mul_f16_e32 v1, v70, v1
	v_cmp_eq_u32_e64 s1, 3, v22
	v_lshrrev_b32_e32 v6, 2, v6
	s_wait_alu 0xf1ff
	v_cndmask_b32_e64 v4, 0, 1, s0
	v_cmp_eq_u32_e64 s0, 0x40f, v17
	v_fma_f16 v1, v68, v21, -v1
	s_delay_alu instid0(VALU_DEP_3) | instskip(SKIP_1) | instid1(VALU_DEP_3)
	v_and_or_b32 v4, 0xffe, v23, v4
	s_wait_alu 0xf1ff
	v_cndmask_b32_e64 v0, v0, v8, s0
	v_cmp_lt_i32_e64 s0, 5, v22
	v_lshrrev_b32_e32 v8, 16, v9
	v_sub_nc_u32_e32 v9, 0x3f1, v26
	v_or_b32_e32 v17, 0x1000, v4
	v_cvt_f32_f16_e32 v1, v1
	s_or_b32 s0, s1, s0
	v_and_or_b32 v22, 0x8000, v8, v0
	s_wait_alu 0xfffe
	v_add_co_ci_u32_e64 v6, s0, 0, v6, s0
	v_med3_i32 v9, v9, 0, 13
	v_cmp_ne_u32_e64 s0, 0, v19
	v_cvt_f64_f32_e32 v[0:1], v1
	s_delay_alu instid0(VALU_DEP_3) | instskip(SKIP_1) | instid1(VALU_DEP_3)
	v_lshrrev_b32_e32 v21, v9, v17
	s_wait_alu 0xf1ff
	v_cndmask_b32_e64 v19, 0, 1, s0
	v_cmp_gt_i32_e64 s0, 31, v20
	v_bfe_u32 v30, v11, 20, 11
	v_lshlrev_b32_e32 v8, v9, v21
	s_delay_alu instid0(VALU_DEP_4)
	v_lshl_or_b32 v19, v19, 9, 0x7c00
	s_wait_alu 0xf1ff
	v_cndmask_b32_e64 v6, 0x7c00, v6, s0
	v_cmp_eq_u32_e64 s0, 0x40f, v20
	v_lshrrev_b32_e32 v20, 16, v7
	s_wait_alu 0xf1ff
	s_delay_alu instid0(VALU_DEP_2)
	v_cndmask_b32_e64 v19, v6, v19, s0
	v_and_or_b32 v6, 0x1ff, v11, v10
	v_cmp_ne_u32_e64 s0, v8, v17
	v_add_nc_u32_e32 v8, 0xe00, v57
	v_add_nc_u32_e32 v17, 0xfffffc10, v26
	v_lshrrev_b32_e32 v26, 8, v11
	v_lshrrev_b32_e32 v11, 16, v11
	s_wait_alu 0xf1ff
	v_cndmask_b32_e64 v10, 0, 1, s0
	v_cmp_ne_u32_e64 s0, 0, v6
	v_mul_f64_e32 v[6:7], s[8:9], v[14:15]
	ds_load_2addr_b32 v[8:9], v8 offset0:4 offset1:154
	v_and_or_b32 v14, 0x8000, v20, v19
	v_or_b32_e32 v10, v21, v10
	s_wait_alu 0xf1ff
	v_cndmask_b32_e64 v23, 0, 1, s0
	v_lshl_or_b32 v15, v17, 12, v4
	v_sub_nc_u32_e32 v20, 0x3f1, v30
	v_cmp_gt_i32_e64 s0, 1, v17
	s_clause 0x1
	global_store_b32 v[2:3], v18, off
	global_store_b32 v[12:13], v16, off
	v_and_or_b32 v19, 0xffe, v26, v23
	v_and_b32_e32 v21, 0xffff, v22
	v_med3_i32 v20, v20, 0, 13
	s_wait_alu 0xf1ff
	v_cndmask_b32_e64 v10, v15, v10, s0
	v_add_co_u32 v2, s0, v12, s6
	v_or_b32_e32 v15, 0x1000, v19
	s_wait_alu 0xf1ff
	v_add_co_ci_u32_e64 v3, s0, s7, v13, s0
	v_and_b32_e32 v16, 7, v10
	v_lshl_or_b32 v14, v14, 16, v21
	v_lshrrev_b32_e32 v18, v20, v15
	s_wait_dscnt 0x0
	v_lshrrev_b32_e32 v21, 16, v8
	v_mul_f64_e32 v[0:1], s[8:9], v[0:1]
	v_cmp_lt_i32_e64 s0, 5, v16
	v_cmp_eq_u32_e64 s1, 3, v16
	v_lshlrev_b32_e32 v12, v20, v18
	v_lshrrev_b32_e32 v10, 2, v10
	v_mul_f16_e32 v13, v67, v21
	global_store_b32 v[2:3], v14, off
	s_or_b32 s0, s1, s0
	v_cmp_ne_u32_e64 s2, v12, v15
	s_wait_alu 0xfffe
	v_add_co_ci_u32_e64 v10, s0, 0, v10, s0
	v_add_nc_u32_e32 v15, 0xfffffc10, v30
	v_cmp_ne_u32_e64 s0, 0, v4
	s_wait_alu 0xf1ff
	v_cndmask_b32_e64 v12, 0, 1, s2
	v_fmac_f16_e32 v13, v66, v8
	v_mul_f16_e32 v8, v67, v8
	v_and_or_b32 v6, 0x1ff, v7, v6
	v_cndmask_b32_e64 v4, 0, 1, s0
	v_or_b32_e32 v16, v18, v12
	v_lshl_or_b32 v18, v15, 12, v19
	v_cmp_gt_i32_e64 s0, 1, v15
	v_cvt_f32_f16_e32 v12, v13
	v_bfe_u32 v20, v7, 20, 11
	v_lshl_or_b32 v4, v4, 9, 0x7c00
	v_fma_f16 v8, v66, v21, -v8
	s_wait_alu 0xf1ff
	v_cndmask_b32_e64 v16, v18, v16, s0
	v_cmp_ne_u32_e64 s0, 0, v6
	v_cvt_f64_f32_e32 v[12:13], v12
	v_lshrrev_b32_e32 v18, 8, v7
	v_cvt_f32_f16_e32 v8, v8
	v_and_b32_e32 v22, 7, v16
	s_wait_alu 0xf1ff
	v_cndmask_b32_e64 v6, 0, 1, s0
	v_cmp_gt_i32_e64 s0, 31, v17
	v_lshrrev_b32_e32 v7, 16, v7
	v_cmp_eq_u32_e64 s1, 3, v22
	s_delay_alu instid0(VALU_DEP_4)
	v_and_or_b32 v6, 0xffe, v18, v6
	s_wait_alu 0xf1ff
	v_cndmask_b32_e64 v10, 0x7c00, v10, s0
	v_sub_nc_u32_e32 v18, 0x3f1, v20
	v_cmp_eq_u32_e64 s0, 0x40f, v17
	v_and_or_b32 v0, 0x1ff, v1, v0
	v_bfe_u32 v21, v1, 20, 11
	v_add_nc_u32_e32 v20, 0xfffffc10, v20
	v_med3_i32 v17, v18, 0, 13
	s_wait_alu 0xf1ff
	v_cndmask_b32_e64 v10, v10, v4, s0
	v_or_b32_e32 v4, 0x1000, v6
	v_cmp_lt_i32_e64 s0, 5, v22
	v_lshrrev_b32_e32 v18, 16, v5
	v_lshrrev_b32_e32 v5, 2, v16
	s_delay_alu instid0(VALU_DEP_4) | instskip(NEXT) | instid1(VALU_DEP_4)
	v_lshrrev_b32_e32 v16, v17, v4
	s_or_b32 s0, s1, s0
	s_delay_alu instid0(VALU_DEP_3)
	v_and_or_b32 v10, 0x8000, v18, v10
	s_wait_alu 0xfffe
	v_add_co_ci_u32_e64 v22, s0, 0, v5, s0
	v_lshlrev_b32_e32 v5, v17, v16
	v_cmp_ne_u32_e64 s0, 0, v0
	v_lshrrev_b32_e32 v17, 8, v1
	v_lshrrev_b32_e32 v18, 16, v9
	s_wait_alu 0xf1ff
	s_delay_alu instid0(VALU_DEP_3) | instskip(SKIP_2) | instid1(VALU_DEP_3)
	v_cndmask_b32_e64 v0, 0, 1, s0
	v_cmp_ne_u32_e64 s0, v5, v4
	v_mul_f64_e32 v[4:5], s[8:9], v[12:13]
	v_and_or_b32 v0, 0xffe, v17, v0
	s_wait_alu 0xf1ff
	s_delay_alu instid0(VALU_DEP_3)
	v_cndmask_b32_e64 v23, 0, 1, s0
	v_cmp_ne_u32_e64 s0, 0, v19
	v_sub_nc_u32_e32 v17, 0x3f1, v21
	v_cvt_f64_f32_e32 v[12:13], v8
	v_lshl_or_b32 v19, v20, 12, v6
	v_or_b32_e32 v16, v16, v23
	s_wait_alu 0xf1ff
	v_cndmask_b32_e64 v8, 0, 1, s0
	v_cmp_gt_i32_e64 s0, 31, v15
	v_or_b32_e32 v23, 0x1000, v0
	v_med3_i32 v17, v17, 0, 13
	s_delay_alu instid0(VALU_DEP_4) | instskip(SKIP_4) | instid1(VALU_DEP_1)
	v_lshl_or_b32 v8, v8, 9, 0x7c00
	s_wait_alu 0xf1ff
	v_cndmask_b32_e64 v22, 0x7c00, v22, s0
	v_cmp_gt_i32_e64 s0, 1, v20
	s_wait_alu 0xf1ff
	v_cndmask_b32_e64 v16, v19, v16, s0
	v_lshrrev_b32_e32 v19, v17, v23
	v_cmp_eq_u32_e64 s0, 0x40f, v15
	s_delay_alu instid0(VALU_DEP_3) | instskip(NEXT) | instid1(VALU_DEP_3)
	v_and_b32_e32 v15, 7, v16
	v_lshlrev_b32_e32 v17, v17, v19
	s_wait_alu 0xf1ff
	s_delay_alu instid0(VALU_DEP_3) | instskip(NEXT) | instid1(VALU_DEP_3)
	v_cndmask_b32_e64 v8, v22, v8, s0
	v_cmp_lt_i32_e64 s0, 5, v15
	s_delay_alu instid0(VALU_DEP_3) | instskip(NEXT) | instid1(VALU_DEP_3)
	v_cmp_ne_u32_e64 s1, v17, v23
	v_and_or_b32 v14, 0x8000, v11, v8
	v_add_nc_u32_e32 v17, 0xfffffc10, v21
	s_wait_alu 0xf1ff
	s_delay_alu instid0(VALU_DEP_3)
	v_cndmask_b32_e64 v8, 0, 1, s1
	v_cmp_eq_u32_e64 s1, 3, v15
	v_and_b32_e32 v15, 0xffff, v10
	v_lshrrev_b32_e32 v10, 2, v16
	v_lshl_or_b32 v11, v17, 12, v0
	v_or_b32_e32 v8, v19, v8
	s_or_b32 s0, s1, s0
	v_and_or_b32 v4, 0x1ff, v5, v4
	s_wait_alu 0xfffe
	v_add_co_ci_u32_e64 v16, s0, 0, v10, s0
	v_cmp_ne_u32_e64 s0, 0, v6
	v_lshrrev_b32_e32 v19, 8, v5
	v_bfe_u32 v21, v5, 20, 11
	v_lshrrev_b32_e32 v5, 16, v5
	s_wait_alu 0xf1ff
	v_cndmask_b32_e64 v6, 0, 1, s0
	v_cmp_gt_i32_e64 s0, 1, v17
	s_delay_alu instid0(VALU_DEP_2) | instskip(SKIP_1) | instid1(VALU_DEP_2)
	v_lshl_or_b32 v6, v6, 9, 0x7c00
	s_wait_alu 0xf1ff
	v_cndmask_b32_e64 v8, v11, v8, s0
	v_cmp_gt_i32_e64 s0, 31, v20
	v_mul_f64_e32 v[10:11], s[8:9], v[12:13]
	v_mul_f16_e32 v13, v65, v18
	s_wait_alu 0xf1ff
	s_delay_alu instid0(VALU_DEP_3)
	v_cndmask_b32_e64 v12, 0x7c00, v16, s0
	v_cmp_ne_u32_e64 s0, 0, v4
	v_and_b32_e32 v16, 7, v8
	v_fmac_f16_e32 v13, v64, v9
	v_lshrrev_b32_e32 v8, 2, v8
	s_wait_alu 0xf1ff
	v_cndmask_b32_e64 v4, 0, 1, s0
	v_cmp_eq_u32_e64 s0, 0x40f, v20
	v_cmp_eq_u32_e64 s1, 3, v16
	s_delay_alu instid0(VALU_DEP_3) | instskip(SKIP_1) | instid1(VALU_DEP_3)
	v_and_or_b32 v4, 0xffe, v19, v4
	s_wait_alu 0xf1ff
	v_cndmask_b32_e64 v6, v12, v6, s0
	v_cmp_lt_i32_e64 s0, 5, v16
	v_cvt_f32_f16_e32 v12, v13
	v_sub_nc_u32_e32 v19, 0x3f1, v21
	v_or_b32_e32 v16, 0x1000, v4
	v_and_or_b32 v22, 0x8000, v7, v6
	s_or_b32 s0, s1, s0
	v_cvt_f64_f32_e32 v[12:13], v12
	s_wait_alu 0xfffe
	v_add_co_ci_u32_e64 v8, s0, 0, v8, s0
	v_cmp_ne_u32_e64 s0, 0, v0
	v_med3_i32 v19, v19, 0, 13
	v_mul_f16_e32 v6, v65, v9
	v_add_nc_u32_e32 v9, 0x1200, v57
	s_wait_alu 0xf1ff
	v_cndmask_b32_e64 v0, 0, 1, s0
	v_cmp_gt_i32_e64 s0, 31, v17
	v_lshrrev_b32_e32 v20, v19, v16
	s_delay_alu instid0(VALU_DEP_3) | instskip(SKIP_1) | instid1(VALU_DEP_3)
	v_lshl_or_b32 v0, v0, 9, 0x7c00
	s_wait_alu 0xf1ff
	v_cndmask_b32_e64 v8, 0x7c00, v8, s0
	v_cmp_eq_u32_e64 s0, 0x40f, v17
	v_lshlrev_b32_e32 v7, v19, v20
	v_lshrrev_b32_e32 v19, 16, v1
	v_and_or_b32 v1, 0x1ff, v11, v10
	v_add_nc_u32_e32 v10, 0xfffffc10, v21
	s_wait_alu 0xf1ff
	v_cndmask_b32_e64 v17, v8, v0, s0
	v_fma_f16 v0, v64, v18, -v6
	v_cmp_ne_u32_e64 s0, v7, v16
	v_lshrrev_b32_e32 v8, 8, v11
	v_bfe_u32 v16, v11, 20, 11
	s_delay_alu instid0(VALU_DEP_4)
	v_cvt_f32_f16_e32 v0, v0
	s_wait_alu 0xf1ff
	v_cndmask_b32_e64 v6, 0, 1, s0
	v_cmp_ne_u32_e64 s0, 0, v1
	v_sub_nc_u32_e32 v23, 0x3f1, v16
	v_add_nc_u32_e32 v16, 0xfffffc10, v16
	v_cvt_f64_f32_e32 v[0:1], v0
	v_or_b32_e32 v18, v20, v6
	s_wait_alu 0xf1ff
	v_cndmask_b32_e64 v7, 0, 1, s0
	v_lshl_or_b32 v20, v10, 12, v4
	v_cmp_gt_i32_e64 s0, 1, v10
	s_delay_alu instid0(VALU_DEP_3)
	v_and_or_b32 v21, 0xffe, v8, v7
	ds_load_2addr_b32 v[6:7], v9 offset0:48 offset1:198
	v_mul_f64_e32 v[8:9], s[8:9], v[12:13]
	v_med3_i32 v13, v23, 0, 13
	s_wait_alu 0xf1ff
	v_cndmask_b32_e64 v18, v20, v18, s0
	v_or_b32_e32 v12, 0x1000, v21
	v_lshl_or_b32 v20, v14, 16, v15
	v_and_or_b32 v14, 0x8000, v19, v17
	v_and_b32_e32 v15, 0xffff, v22
	v_and_b32_e32 v17, 7, v18
	v_lshrrev_b32_e32 v19, v13, v12
	v_add_co_u32 v2, s0, v2, s6
	s_wait_alu 0xf1ff
	v_add_co_ci_u32_e64 v3, s0, s7, v3, s0
	s_delay_alu instid0(VALU_DEP_3)
	v_lshlrev_b32_e32 v13, v13, v19
	v_cmp_lt_i32_e64 s0, 5, v17
	v_cmp_eq_u32_e64 s1, 3, v17
	v_lshl_or_b32 v22, v14, 16, v15
	v_lshrrev_b32_e32 v14, 2, v18
	v_cmp_ne_u32_e64 s2, v13, v12
	s_wait_dscnt 0x0
	v_lshrrev_b32_e32 v17, 16, v6
	s_or_b32 s0, s1, s0
	v_lshl_or_b32 v15, v16, 12, v21
	s_wait_alu 0xfffe
	v_add_co_ci_u32_e64 v14, s0, 0, v14, s0
	v_cndmask_b32_e64 v12, 0, 1, s2
	v_mul_f16_e32 v13, v63, v17
	v_cmp_ne_u32_e64 s0, 0, v4
	s_delay_alu instid0(VALU_DEP_3) | instskip(NEXT) | instid1(VALU_DEP_3)
	v_or_b32_e32 v12, v19, v12
	v_fmac_f16_e32 v13, v62, v6
	s_wait_alu 0xf1ff
	s_delay_alu instid0(VALU_DEP_3) | instskip(SKIP_3) | instid1(VALU_DEP_4)
	v_cndmask_b32_e64 v4, 0, 1, s0
	v_mul_f64_e32 v[0:1], s[8:9], v[0:1]
	v_cmp_gt_i32_e64 s0, 1, v16
	v_mul_f16_e32 v6, v63, v6
	v_lshl_or_b32 v4, v4, 9, 0x7c00
	s_wait_alu 0xf1ff
	s_delay_alu instid0(VALU_DEP_3)
	v_cndmask_b32_e64 v18, v15, v12, s0
	v_cvt_f32_f16_e32 v12, v13
	v_cmp_gt_i32_e64 s0, 31, v10
	v_and_or_b32 v8, 0x1ff, v9, v8
	v_fma_f16 v6, v62, v17, -v6
	v_and_b32_e32 v23, 7, v18
	v_cvt_f64_f32_e32 v[12:13], v12
	s_wait_alu 0xf1ff
	v_cndmask_b32_e64 v19, 0x7c00, v14, s0
	v_add_co_u32 v14, s0, v2, s6
	s_wait_alu 0xf1ff
	v_add_co_ci_u32_e64 v15, s0, s7, v3, s0
	v_cmp_eq_u32_e64 s0, 0x40f, v10
	v_cmp_ne_u32_e64 s1, 0, v8
	v_lshrrev_b32_e32 v18, 2, v18
	v_lshrrev_b32_e32 v10, 8, v9
	v_cvt_f32_f16_e32 v6, v6
	s_wait_alu 0xf1ff
	v_cndmask_b32_e64 v4, v19, v4, s0
	v_cmp_lt_i32_e64 s0, 5, v23
	v_cndmask_b32_e64 v8, 0, 1, s1
	v_cmp_eq_u32_e64 s1, 3, v23
	v_bfe_u32 v19, v9, 20, 11
	v_and_or_b32 v26, 0x8000, v5, v4
	global_store_b32 v[2:3], v20, off
	global_store_b32 v[14:15], v22, off
	v_and_or_b32 v8, 0xffe, v10, v8
	s_or_b32 s0, s1, s0
	v_sub_nc_u32_e32 v10, 0x3f1, v19
	s_wait_alu 0xfffe
	v_add_co_ci_u32_e64 v18, s0, 0, v18, s0
	v_cmp_ne_u32_e64 s0, 0, v21
	v_or_b32_e32 v23, 0x1000, v8
	v_med3_i32 v10, v10, 0, 13
	v_and_or_b32 v0, 0x1ff, v1, v0
	v_add_nc_u32_e32 v17, 0xfffffc10, v19
	s_wait_alu 0xf1ff
	v_cndmask_b32_e64 v21, 0, 1, s0
	v_cmp_gt_i32_e64 s0, 31, v16
	v_lshrrev_b32_e32 v30, v10, v23
	v_lshrrev_b32_e32 v9, 16, v9
	v_cmp_eq_u32_e64 s2, 0x40f, v17
	v_lshl_or_b32 v21, v21, 9, 0x7c00
	s_wait_alu 0xf1ff
	v_cndmask_b32_e64 v18, 0x7c00, v18, s0
	v_cmp_eq_u32_e64 s0, 0x40f, v16
	v_lshlrev_b32_e32 v10, v10, v30
	v_mul_f64_e32 v[4:5], s[8:9], v[12:13]
	v_lshl_or_b32 v13, v17, 12, v8
	s_wait_alu 0xf1ff
	v_cndmask_b32_e64 v16, v18, v21, s0
	v_cmp_ne_u32_e64 s0, 0, v0
	v_lshrrev_b32_e32 v18, 16, v11
	v_lshrrev_b32_e32 v11, 8, v1
	v_bfe_u32 v21, v1, 20, 11
	v_lshrrev_b32_e32 v1, 16, v1
	s_wait_alu 0xf1ff
	v_cndmask_b32_e64 v0, 0, 1, s0
	v_cmp_ne_u32_e64 s0, v10, v23
	s_delay_alu instid0(VALU_DEP_2) | instskip(SKIP_1) | instid1(VALU_DEP_2)
	v_and_or_b32 v0, 0xffe, v11, v0
	s_wait_alu 0xf1ff
	v_cndmask_b32_e64 v10, 0, 1, s0
	v_sub_nc_u32_e32 v11, 0x3f1, v21
	v_cmp_gt_i32_e64 s0, 1, v17
	v_or_b32_e32 v19, 0x1000, v0
	s_delay_alu instid0(VALU_DEP_4) | instskip(NEXT) | instid1(VALU_DEP_4)
	v_or_b32_e32 v12, v30, v10
	v_med3_i32 v23, v11, 0, 13
	v_cvt_f64_f32_e32 v[10:11], v6
	v_and_or_b32 v6, 0x8000, v18, v16
	v_and_b32_e32 v16, 0xffff, v26
	s_wait_alu 0xf1ff
	v_cndmask_b32_e64 v12, v13, v12, s0
	v_lshrrev_b32_e32 v13, v23, v19
	v_add_co_u32 v2, s0, v14, s6
	v_lshl_or_b32 v16, v6, 16, v16
	s_delay_alu instid0(VALU_DEP_4) | instskip(NEXT) | instid1(VALU_DEP_4)
	v_and_b32_e32 v6, 7, v12
	v_lshlrev_b32_e32 v18, v23, v13
	v_lshrrev_b32_e32 v14, 16, v7
	s_wait_alu 0xf1ff
	v_add_co_ci_u32_e64 v3, s0, s7, v15, s0
	v_cmp_lt_i32_e64 s0, 5, v6
	v_cmp_ne_u32_e64 s1, v18, v19
	v_add_nc_u32_e32 v18, 0xfffffc10, v21
	v_mul_f16_e32 v19, v61, v14
	v_and_or_b32 v4, 0x1ff, v5, v4
	v_lshrrev_b32_e32 v20, 8, v5
	s_wait_alu 0xf1ff
	v_cndmask_b32_e64 v15, 0, 1, s1
	v_cmp_eq_u32_e64 s1, 3, v6
	v_lshrrev_b32_e32 v6, 2, v12
	v_fmac_f16_e32 v19, v59, v7
	s_delay_alu instid0(VALU_DEP_4) | instskip(NEXT) | instid1(VALU_DEP_4)
	v_or_b32_e32 v12, v13, v15
	s_or_b32 s0, s1, s0
	v_lshl_or_b32 v13, v18, 12, v0
	s_wait_alu 0xfffe
	v_add_co_ci_u32_e64 v6, s0, 0, v6, s0
	v_cmp_gt_i32_e64 s0, 1, v18
	v_cvt_f32_f16_e32 v15, v19
	s_wait_alu 0xf1ff
	s_delay_alu instid0(VALU_DEP_2) | instskip(SKIP_1) | instid1(VALU_DEP_3)
	v_cndmask_b32_e64 v19, v13, v12, s0
	v_cmp_ne_u32_e64 s0, 0, v4
	v_cvt_f64_f32_e32 v[12:13], v15
	v_bfe_u32 v15, v5, 20, 11
	v_mul_f64_e32 v[10:11], s[8:9], v[10:11]
	v_and_b32_e32 v21, 7, v19
	s_wait_alu 0xf1ff
	v_cndmask_b32_e64 v4, 0, 1, s0
	v_cmp_ne_u32_e64 s0, 0, v8
	v_lshrrev_b32_e32 v19, 2, v19
	v_cmp_eq_u32_e64 s1, 3, v21
	s_delay_alu instid0(VALU_DEP_4)
	v_and_or_b32 v4, 0xffe, v20, v4
	s_wait_alu 0xf1ff
	v_cndmask_b32_e64 v8, 0, 1, s0
	v_cmp_gt_i32_e64 s0, 31, v17
	v_sub_nc_u32_e32 v20, 0x3f1, v15
	v_add_nc_u32_e32 v15, 0xfffffc10, v15
	v_or_b32_e32 v22, 0x1000, v4
	v_lshl_or_b32 v8, v8, 9, 0x7c00
	s_wait_alu 0xf1ff
	v_cndmask_b32_e64 v6, 0x7c00, v6, s0
	v_cmp_lt_i32_e64 s0, 5, v21
	v_med3_i32 v20, v20, 0, 13
	s_delay_alu instid0(VALU_DEP_3) | instskip(NEXT) | instid1(VALU_DEP_3)
	v_cndmask_b32_e64 v6, v6, v8, s2
	s_or_b32 s0, s1, s0
	s_delay_alu instid0(VALU_DEP_2)
	v_lshrrev_b32_e32 v8, v20, v22
	s_wait_alu 0xfffe
	v_add_co_ci_u32_e64 v17, s0, 0, v19, s0
	v_cmp_ne_u32_e64 s0, 0, v0
	v_and_or_b32 v9, 0x8000, v9, v6
	v_lshlrev_b32_e32 v19, v20, v8
	s_wait_alu 0xf1ff
	s_delay_alu instid0(VALU_DEP_3) | instskip(SKIP_2) | instid1(VALU_DEP_3)
	v_cndmask_b32_e64 v0, 0, 1, s0
	v_cmp_gt_i32_e64 s0, 31, v18
	v_and_b32_e32 v9, 0xffff, v9
	v_lshl_or_b32 v0, v0, 9, 0x7c00
	s_wait_alu 0xf1ff
	s_delay_alu instid0(VALU_DEP_3) | instskip(SKIP_3) | instid1(VALU_DEP_2)
	v_cndmask_b32_e64 v17, 0x7c00, v17, s0
	v_cmp_ne_u32_e64 s0, v19, v22
	v_and_or_b32 v10, 0x1ff, v11, v10
	s_wait_alu 0xf1ff
	v_cndmask_b32_e64 v6, 0, 1, s0
	v_cmp_eq_u32_e64 s0, 0x40f, v18
	v_mul_f16_e32 v18, v61, v7
	s_delay_alu instid0(VALU_DEP_3) | instskip(SKIP_1) | instid1(VALU_DEP_3)
	v_or_b32_e32 v8, v8, v6
	s_wait_alu 0xf1ff
	v_cndmask_b32_e64 v0, v17, v0, s0
	ds_load_b32 v17, v57 offset:6000
	v_mul_f64_e32 v[6:7], s[8:9], v[12:13]
	v_lshl_or_b32 v12, v15, 12, v4
	v_fma_f16 v13, v59, v14, -v18
	v_cmp_gt_i32_e64 s0, 1, v15
	v_bfe_u32 v14, v11, 20, 11
	v_and_or_b32 v18, 0x8000, v1, v0
	s_wait_alu 0xf1ff
	s_delay_alu instid0(VALU_DEP_3)
	v_cndmask_b32_e64 v8, v12, v8, s0
	v_cmp_ne_u32_e64 s0, 0, v10
	v_cvt_f32_f16_e32 v12, v13
	v_lshrrev_b32_e32 v13, 8, v11
	v_lshl_or_b32 v18, v18, 16, v9
	v_and_b32_e32 v19, 7, v8
	s_wait_alu 0xf1ff
	v_cndmask_b32_e64 v10, 0, 1, s0
	v_cvt_f64_f32_e32 v[0:1], v12
	v_sub_nc_u32_e32 v12, 0x3f1, v14
	v_lshrrev_b32_e32 v8, 2, v8
	v_cmp_lt_i32_e64 s0, 5, v19
	v_and_or_b32 v10, 0xffe, v13, v10
	s_wait_dscnt 0x0
	v_lshrrev_b32_e32 v13, 16, v17
	v_cmp_eq_u32_e64 s1, 3, v19
	v_med3_i32 v12, v12, 0, 13
	v_add_nc_u32_e32 v14, 0xfffffc10, v14
	v_or_b32_e32 v20, 0x1000, v10
	v_mul_f16_e32 v21, v60, v13
	s_or_b32 s0, s1, s0
	s_wait_alu 0xfffe
	v_add_co_ci_u32_e64 v8, s0, 0, v8, s0
	v_lshrrev_b32_e32 v19, v12, v20
	v_fmac_f16_e32 v21, v58, v17
	v_cmp_ne_u32_e64 s0, 0, v4
	v_mul_f16_e32 v17, v60, v17
	s_delay_alu instid0(VALU_DEP_4) | instskip(NEXT) | instid1(VALU_DEP_4)
	v_lshlrev_b32_e32 v12, v12, v19
	v_cvt_f32_f16_e32 v9, v21
	s_wait_alu 0xf1ff
	v_cndmask_b32_e64 v4, 0, 1, s0
	v_cmp_gt_i32_e64 s0, 31, v15
	v_and_or_b32 v6, 0x1ff, v7, v6
	v_fma_f16 v13, v58, v13, -v17
	v_lshl_or_b32 v17, v14, 12, v10
	v_lshl_or_b32 v4, v4, 9, 0x7c00
	s_wait_alu 0xf1ff
	v_cndmask_b32_e64 v21, 0x7c00, v8, s0
	v_cvt_f64_f32_e32 v[8:9], v9
	v_cmp_ne_u32_e64 s0, v12, v20
	v_lshrrev_b32_e32 v20, 8, v7
	v_cvt_f32_f16_e32 v13, v13
	s_wait_alu 0xf1ff
	s_delay_alu instid0(VALU_DEP_3) | instskip(SKIP_2) | instid1(VALU_DEP_3)
	v_cndmask_b32_e64 v12, 0, 1, s0
	v_cmp_ne_u32_e64 s0, 0, v6
	v_mul_f64_e32 v[0:1], s[8:9], v[0:1]
	v_or_b32_e32 v12, v19, v12
	s_wait_alu 0xf1ff
	s_delay_alu instid0(VALU_DEP_3) | instskip(SKIP_3) | instid1(VALU_DEP_4)
	v_cndmask_b32_e64 v6, 0, 1, s0
	v_bfe_u32 v19, v7, 20, 11
	v_cmp_gt_i32_e64 s0, 1, v14
	v_lshrrev_b32_e32 v7, 16, v7
	v_and_or_b32 v6, 0xffe, v20, v6
	s_delay_alu instid0(VALU_DEP_4)
	v_sub_nc_u32_e32 v20, 0x3f1, v19
	s_wait_alu 0xf1ff
	v_cndmask_b32_e64 v17, v17, v12, s0
	v_cmp_eq_u32_e64 s0, 0x40f, v15
	v_cvt_f64_f32_e32 v[12:13], v13
	v_or_b32_e32 v22, 0x1000, v6
	v_med3_i32 v20, v20, 0, 13
	v_and_b32_e32 v23, 7, v17
	s_wait_alu 0xf1ff
	v_cndmask_b32_e64 v15, v21, v4, s0
	v_add_co_u32 v4, s0, v2, s6
	v_lshrrev_b32_e32 v26, v20, v22
	v_lshrrev_b32_e32 v21, 16, v5
	s_wait_alu 0xf1ff
	v_add_co_ci_u32_e64 v5, s0, s7, v3, s0
	v_cmp_lt_i32_e64 s0, 5, v23
	v_cmp_eq_u32_e64 s1, 3, v23
	v_lshrrev_b32_e32 v17, 2, v17
	v_lshlrev_b32_e32 v20, v20, v26
	v_add_nc_u32_e32 v19, 0xfffffc10, v19
	v_and_or_b32 v15, 0x8000, v21, v15
	s_or_b32 s0, s1, s0
	v_mul_f64_e32 v[8:9], s[8:9], v[8:9]
	s_wait_alu 0xfffe
	v_add_co_ci_u32_e64 v17, s0, 0, v17, s0
	v_cmp_ne_u32_e64 s2, v20, v22
	v_cmp_ne_u32_e64 s0, 0, v10
	v_lshl_or_b32 v21, v19, 12, v6
	s_wait_alu 0xf1ff
	s_delay_alu instid0(VALU_DEP_3) | instskip(NEXT) | instid1(VALU_DEP_3)
	v_cndmask_b32_e64 v20, 0, 1, s2
	v_cndmask_b32_e64 v10, 0, 1, s0
	v_cmp_gt_i32_e64 s0, 31, v14
	v_and_or_b32 v0, 0x1ff, v1, v0
	v_lshrrev_b32_e32 v22, 8, v1
	v_or_b32_e32 v20, v26, v20
	v_lshl_or_b32 v10, v10, 9, 0x7c00
	s_wait_alu 0xf1ff
	v_cndmask_b32_e64 v17, 0x7c00, v17, s0
	v_cmp_gt_i32_e64 s0, 1, v19
	s_wait_alu 0xf1ff
	s_delay_alu instid0(VALU_DEP_1) | instskip(SKIP_1) | instid1(VALU_DEP_2)
	v_cndmask_b32_e64 v20, v21, v20, s0
	v_cmp_eq_u32_e64 s0, 0x40f, v14
	v_and_b32_e32 v21, 7, v20
	s_wait_alu 0xf1ff
	s_delay_alu instid0(VALU_DEP_2)
	v_cndmask_b32_e64 v14, v17, v10, s0
	v_lshrrev_b32_e32 v17, 16, v11
	v_cmp_ne_u32_e64 s0, 0, v0
	v_mul_f64_e32 v[10:11], s[8:9], v[12:13]
	v_bfe_u32 v12, v1, 20, 11
	v_cmp_eq_u32_e64 s1, 3, v21
	v_and_or_b32 v13, 0x8000, v17, v14
	v_and_b32_e32 v14, 0xffff, v15
	s_wait_alu 0xf1ff
	v_cndmask_b32_e64 v0, 0, 1, s0
	v_cmp_lt_i32_e64 s0, 5, v21
	v_sub_nc_u32_e32 v15, 0x3f1, v12
	v_and_or_b32 v8, 0x1ff, v9, v8
	v_lshl_or_b32 v13, v13, 16, v14
	v_lshrrev_b32_e32 v14, 2, v20
	v_and_or_b32 v0, 0xffe, v22, v0
	s_or_b32 s0, s1, s0
	v_med3_i32 v15, v15, 0, 13
	v_lshrrev_b32_e32 v21, 8, v9
	s_wait_alu 0xfffe
	v_add_co_ci_u32_e64 v14, s0, 0, v14, s0
	v_or_b32_e32 v17, 0x1000, v0
	v_cmp_ne_u32_e64 s0, 0, v6
	v_bfe_u32 v22, v9, 20, 11
	v_add_nc_u32_e32 v12, 0xfffffc10, v12
	v_lshrrev_b32_e32 v1, 16, v1
	v_lshrrev_b32_e32 v20, v15, v17
	s_wait_alu 0xf1ff
	v_cndmask_b32_e64 v6, 0, 1, s0
	v_cmp_gt_i32_e64 s0, 31, v19
	v_lshrrev_b32_e32 v9, 16, v9
	v_lshlrev_b32_e32 v15, v15, v20
	s_delay_alu instid0(VALU_DEP_4) | instskip(SKIP_4) | instid1(VALU_DEP_1)
	v_lshl_or_b32 v6, v6, 9, 0x7c00
	s_wait_alu 0xf1ff
	v_cndmask_b32_e64 v14, 0x7c00, v14, s0
	v_cmp_ne_u32_e64 s0, 0, v8
	s_wait_alu 0xf1ff
	v_cndmask_b32_e64 v8, 0, 1, s0
	v_cmp_ne_u32_e64 s0, v15, v17
	v_sub_nc_u32_e32 v17, 0x3f1, v22
	v_and_or_b32 v10, 0x1ff, v11, v10
	s_delay_alu instid0(VALU_DEP_4)
	v_and_or_b32 v8, 0xffe, v21, v8
	s_wait_alu 0xf1ff
	v_cndmask_b32_e64 v15, 0, 1, s0
	v_cmp_eq_u32_e64 s0, 0x40f, v19
	v_med3_i32 v17, v17, 0, 13
	v_bfe_u32 v21, v11, 20, 11
	v_or_b32_e32 v19, 0x1000, v8
	s_wait_alu 0xf1ff
	v_cndmask_b32_e64 v6, v14, v6, s0
	v_or_b32_e32 v14, v20, v15
	v_lshl_or_b32 v15, v12, 12, v0
	v_cmp_gt_i32_e64 s0, 1, v12
	v_lshrrev_b32_e32 v20, 8, v11
	v_and_or_b32 v6, 0x8000, v7, v6
	s_wait_alu 0xf1ff
	s_delay_alu instid0(VALU_DEP_3) | instskip(SKIP_2) | instid1(VALU_DEP_3)
	v_cndmask_b32_e64 v14, v15, v14, s0
	v_lshrrev_b32_e32 v15, v17, v19
	v_cmp_ne_u32_e64 s0, 0, v10
	v_and_b32_e32 v23, 7, v14
	s_delay_alu instid0(VALU_DEP_3) | instskip(SKIP_1) | instid1(VALU_DEP_3)
	v_lshlrev_b32_e32 v17, v17, v15
	s_wait_alu 0xf1ff
	v_cndmask_b32_e64 v10, 0, 1, s0
	v_lshrrev_b32_e32 v14, 2, v14
	v_cmp_lt_i32_e64 s0, 5, v23
	v_cmp_ne_u32_e64 s1, v17, v19
	s_delay_alu instid0(VALU_DEP_4)
	v_and_or_b32 v7, 0xffe, v20, v10
	v_sub_nc_u32_e32 v10, 0x3f1, v21
	v_add_nc_u32_e32 v20, 0xfffffc10, v22
	s_wait_alu 0xf1ff
	v_cndmask_b32_e64 v17, 0, 1, s1
	v_cmp_eq_u32_e64 s1, 3, v23
	v_or_b32_e32 v19, 0x1000, v7
	v_med3_i32 v10, v10, 0, 13
	v_lshl_or_b32 v22, v20, 12, v8
	v_or_b32_e32 v15, v15, v17
	s_or_b32 s0, s1, s0
	s_wait_alu 0xfffe
	v_add_co_ci_u32_e64 v14, s0, 0, v14, s0
	v_lshrrev_b32_e32 v17, v10, v19
	v_cmp_gt_i32_e64 s0, 1, v20
	s_delay_alu instid0(VALU_DEP_2) | instskip(SKIP_1) | instid1(VALU_DEP_2)
	v_lshlrev_b32_e32 v10, v10, v17
	s_wait_alu 0xf1ff
	v_cndmask_b32_e64 v15, v22, v15, s0
	v_cmp_ne_u32_e64 s0, 0, v0
	s_wait_alu 0xf1ff
	s_delay_alu instid0(VALU_DEP_1) | instskip(SKIP_3) | instid1(VALU_DEP_4)
	v_cndmask_b32_e64 v0, 0, 1, s0
	v_cmp_ne_u32_e64 s0, v10, v19
	v_add_nc_u32_e32 v19, 0xfffffc10, v21
	v_and_b32_e32 v21, 7, v15
	v_lshl_or_b32 v0, v0, 9, 0x7c00
	s_wait_alu 0xf1ff
	v_cndmask_b32_e64 v10, 0, 1, s0
	v_cmp_gt_i32_e64 s0, 31, v12
	v_cmp_gt_i32_e64 s2, 1, v19
	v_cmp_eq_u32_e64 s1, 3, v21
	s_delay_alu instid0(VALU_DEP_4) | instskip(SKIP_4) | instid1(VALU_DEP_3)
	v_or_b32_e32 v10, v17, v10
	v_lshl_or_b32 v17, v19, 12, v7
	s_wait_alu 0xf1ff
	v_cndmask_b32_e64 v14, 0x7c00, v14, s0
	v_cmp_lt_i32_e64 s0, 5, v21
	v_cndmask_b32_e64 v10, v17, v10, s2
	v_cmp_eq_u32_e64 s2, 0x40f, v12
	v_lshrrev_b32_e32 v12, 2, v15
	s_delay_alu instid0(VALU_DEP_4) | instskip(NEXT) | instid1(VALU_DEP_2)
	s_or_b32 s0, s1, s0
	v_cndmask_b32_e64 v0, v14, v0, s2
	s_wait_alu 0xfffe
	s_delay_alu instid0(VALU_DEP_2)
	v_add_co_ci_u32_e64 v12, s0, 0, v12, s0
	v_and_b32_e32 v14, 7, v10
	v_cmp_ne_u32_e64 s0, 0, v8
	v_lshrrev_b32_e32 v10, 2, v10
	v_cmp_gt_i32_e64 s2, 31, v20
	v_and_or_b32 v0, 0x8000, v1, v0
	v_cmp_eq_u32_e64 s1, 3, v14
	s_wait_alu 0xf1ff
	v_cndmask_b32_e64 v8, 0, 1, s0
	v_cmp_lt_i32_e64 s0, 5, v14
	v_cndmask_b32_e64 v12, 0x7c00, v12, s2
	v_and_b32_e32 v1, 0xffff, v6
	s_delay_alu instid0(VALU_DEP_4) | instskip(NEXT) | instid1(VALU_DEP_4)
	v_lshl_or_b32 v8, v8, 9, 0x7c00
	s_or_b32 s0, s1, s0
	s_wait_alu 0xfffe
	v_add_co_ci_u32_e64 v10, s0, 0, v10, s0
	v_cmp_ne_u32_e64 s0, 0, v7
	s_wait_alu 0xf1ff
	s_delay_alu instid0(VALU_DEP_1) | instskip(SKIP_1) | instid1(VALU_DEP_2)
	v_cndmask_b32_e64 v7, 0, 1, s0
	v_cmp_eq_u32_e64 s0, 0x40f, v20
	v_lshl_or_b32 v7, v7, 9, 0x7c00
	s_wait_alu 0xf1ff
	s_delay_alu instid0(VALU_DEP_2) | instskip(SKIP_1) | instid1(VALU_DEP_2)
	v_cndmask_b32_e64 v8, v12, v8, s0
	v_cmp_gt_i32_e64 s0, 31, v19
	v_and_or_b32 v8, 0x8000, v9, v8
	s_wait_alu 0xf1ff
	s_delay_alu instid0(VALU_DEP_2) | instskip(SKIP_2) | instid1(VALU_DEP_1)
	v_cndmask_b32_e64 v10, 0x7c00, v10, s0
	v_cmp_eq_u32_e64 s0, 0x40f, v19
	s_wait_alu 0xf1ff
	v_cndmask_b32_e64 v9, v10, v7, s0
	v_lshrrev_b32_e32 v10, 16, v11
	v_add_co_u32 v6, s0, v4, s6
	s_wait_alu 0xf1ff
	v_add_co_ci_u32_e64 v7, s0, s7, v5, s0
	v_lshl_or_b32 v11, v0, 16, v1
	v_and_or_b32 v0, 0x8000, v10, v9
	v_and_b32_e32 v1, 0xffff, v8
	v_add_co_u32 v8, s0, v6, s6
	s_wait_alu 0xf1ff
	v_add_co_ci_u32_e64 v9, s0, s7, v7, s0
	s_delay_alu instid0(VALU_DEP_3) | instskip(NEXT) | instid1(VALU_DEP_3)
	v_lshl_or_b32 v10, v0, 16, v1
	v_add_co_u32 v0, s0, v8, s6
	s_wait_alu 0xf1ff
	s_delay_alu instid0(VALU_DEP_3)
	v_add_co_ci_u32_e64 v1, s0, s7, v9, s0
	global_store_b32 v[2:3], v16, off
	global_store_b32 v[4:5], v18, off
	;; [unrolled: 1-line block ×5, first 2 shown]
	s_and_b32 exec_lo, exec_lo, vcc_lo
	s_cbranch_execz .LBB0_23
; %bb.22:
	global_load_b32 v4, v[24:25], off offset:440
	v_add_nc_u32_e32 v2, 0x100, v57
	v_mad_co_u64_u32 v[0:1], null, 0xffffea48, s4, v[0:1]
	ds_load_2addr_b32 v[2:3], v2 offset0:46 offset1:196
	s_wait_dscnt 0x0
	v_lshrrev_b32_e32 v5, 16, v2
	s_wait_loadcnt 0x0
	v_lshrrev_b32_e32 v6, 16, v4
	s_delay_alu instid0(VALU_DEP_1) | instskip(SKIP_1) | instid1(VALU_DEP_2)
	v_mul_f16_e32 v7, v5, v6
	v_mul_f16_e32 v6, v2, v6
	v_fmac_f16_e32 v7, v2, v4
	s_delay_alu instid0(VALU_DEP_2) | instskip(NEXT) | instid1(VALU_DEP_2)
	v_fma_f16 v2, v4, v5, -v6
	v_cvt_f32_f16_e32 v4, v7
	s_delay_alu instid0(VALU_DEP_2) | instskip(NEXT) | instid1(VALU_DEP_2)
	v_cvt_f32_f16_e32 v2, v2
	v_cvt_f64_f32_e32 v[4:5], v4
	s_delay_alu instid0(VALU_DEP_2) | instskip(NEXT) | instid1(VALU_DEP_2)
	v_cvt_f64_f32_e32 v[6:7], v2
	v_mul_f64_e32 v[4:5], s[8:9], v[4:5]
	s_delay_alu instid0(VALU_DEP_2) | instskip(NEXT) | instid1(VALU_DEP_2)
	v_mul_f64_e32 v[6:7], s[8:9], v[6:7]
	v_and_or_b32 v2, 0x1ff, v5, v4
	s_delay_alu instid0(VALU_DEP_2)
	v_and_or_b32 v6, 0x1ff, v7, v6
	v_lshrrev_b32_e32 v4, 8, v5
	v_bfe_u32 v8, v5, 20, 11
	v_lshrrev_b32_e32 v9, 8, v7
	v_cmp_ne_u32_e32 vcc_lo, 0, v2
	v_bfe_u32 v10, v7, 20, 11
	v_lshrrev_b32_e32 v5, 16, v5
	v_sub_nc_u32_e32 v11, 0x3f1, v8
	v_add_nc_u32_e32 v8, 0xfffffc10, v8
	s_wait_alu 0xfffd
	v_cndmask_b32_e64 v2, 0, 1, vcc_lo
	v_cmp_ne_u32_e32 vcc_lo, 0, v6
	v_lshrrev_b32_e32 v7, 16, v7
	s_delay_alu instid0(VALU_DEP_3) | instskip(SKIP_4) | instid1(VALU_DEP_3)
	v_and_or_b32 v2, 0xffe, v4, v2
	s_wait_alu 0xfffd
	v_cndmask_b32_e64 v6, 0, 1, vcc_lo
	v_sub_nc_u32_e32 v4, 0x3f1, v10
	v_add_nc_u32_e32 v10, 0xfffffc10, v10
	v_and_or_b32 v6, 0xffe, v9, v6
	v_med3_i32 v9, v11, 0, 13
	v_or_b32_e32 v11, 0x1000, v2
	v_med3_i32 v4, v4, 0, 13
	s_delay_alu instid0(VALU_DEP_4) | instskip(NEXT) | instid1(VALU_DEP_3)
	v_or_b32_e32 v12, 0x1000, v6
	v_lshrrev_b32_e32 v13, v9, v11
	s_delay_alu instid0(VALU_DEP_2) | instskip(NEXT) | instid1(VALU_DEP_2)
	v_lshrrev_b32_e32 v14, v4, v12
	v_lshlrev_b32_e32 v9, v9, v13
	s_delay_alu instid0(VALU_DEP_1) | instskip(SKIP_3) | instid1(VALU_DEP_1)
	v_cmp_ne_u32_e32 vcc_lo, v9, v11
	v_lshl_or_b32 v11, v8, 12, v2
	s_wait_alu 0xfffd
	v_cndmask_b32_e64 v9, 0, 1, vcc_lo
	v_or_b32_e32 v9, v13, v9
	v_lshlrev_b32_e32 v4, v4, v14
	s_delay_alu instid0(VALU_DEP_1) | instskip(SKIP_4) | instid1(VALU_DEP_2)
	v_cmp_ne_u32_e32 vcc_lo, v4, v12
	v_lshl_or_b32 v12, v10, 12, v6
	s_wait_alu 0xfffd
	v_cndmask_b32_e64 v4, 0, 1, vcc_lo
	v_cmp_gt_i32_e32 vcc_lo, 1, v8
	v_or_b32_e32 v4, v14, v4
	s_wait_alu 0xfffd
	v_cndmask_b32_e32 v9, v11, v9, vcc_lo
	v_cmp_gt_i32_e32 vcc_lo, 1, v10
	s_wait_alu 0xfffd
	s_delay_alu instid0(VALU_DEP_2) | instskip(SKIP_2) | instid1(VALU_DEP_3)
	v_dual_cndmask_b32 v4, v12, v4 :: v_dual_and_b32 v11, 7, v9
	v_cmp_ne_u32_e32 vcc_lo, 0, v2
	v_lshrrev_b32_e32 v9, 2, v9
	v_cmp_eq_u32_e64 s0, 3, v11
	s_wait_alu 0xfffd
	v_cndmask_b32_e64 v2, 0, 1, vcc_lo
	v_cmp_ne_u32_e32 vcc_lo, 0, v6
	s_delay_alu instid0(VALU_DEP_2) | instskip(SKIP_3) | instid1(VALU_DEP_2)
	v_lshl_or_b32 v2, v2, 9, 0x7c00
	s_wait_alu 0xfffd
	v_cndmask_b32_e64 v6, 0, 1, vcc_lo
	v_cmp_lt_i32_e32 vcc_lo, 5, v11
	v_lshl_or_b32 v6, v6, 9, 0x7c00
	s_or_b32 vcc_lo, s0, vcc_lo
	s_mul_i32 s0, s5, 0xffffea48
	s_wait_alu 0xfffe
	v_add_co_ci_u32_e32 v9, vcc_lo, 0, v9, vcc_lo
	v_and_b32_e32 v12, 7, v4
	v_lshrrev_b32_e32 v4, 2, v4
	s_sub_co_i32 s0, s0, s4
	s_wait_alu 0xfffe
	v_add_nc_u32_e32 v1, s0, v1
	v_cmp_lt_i32_e64 s1, 5, v12
	v_cmp_eq_u32_e64 s2, 3, v12
	s_delay_alu instid0(VALU_DEP_1)
	s_or_b32 vcc_lo, s2, s1
	s_wait_alu 0xfffe
	v_add_co_ci_u32_e32 v4, vcc_lo, 0, v4, vcc_lo
	v_cmp_gt_i32_e32 vcc_lo, 31, v8
	s_wait_alu 0xfffd
	v_cndmask_b32_e32 v9, 0x7c00, v9, vcc_lo
	v_cmp_gt_i32_e32 vcc_lo, 31, v10
	s_wait_alu 0xfffd
	v_cndmask_b32_e32 v4, 0x7c00, v4, vcc_lo
	v_cmp_eq_u32_e32 vcc_lo, 0x40f, v8
	s_wait_alu 0xfffd
	v_cndmask_b32_e32 v2, v9, v2, vcc_lo
	v_cmp_eq_u32_e32 vcc_lo, 0x40f, v10
	s_delay_alu instid0(VALU_DEP_2) | instskip(SKIP_2) | instid1(VALU_DEP_2)
	v_and_or_b32 v2, 0x8000, v5, v2
	s_wait_alu 0xfffd
	v_cndmask_b32_e32 v4, v4, v6, vcc_lo
	v_and_b32_e32 v2, 0xffff, v2
	s_delay_alu instid0(VALU_DEP_2) | instskip(NEXT) | instid1(VALU_DEP_1)
	v_and_or_b32 v4, 0x8000, v7, v4
	v_lshl_or_b32 v2, v4, 16, v2
	v_lshrrev_b32_e32 v4, 16, v3
	global_store_b32 v[0:1], v2, off
	global_load_b32 v2, v[24:25], off offset:1040
	s_wait_loadcnt 0x0
	v_lshrrev_b32_e32 v5, 16, v2
	s_delay_alu instid0(VALU_DEP_1) | instskip(SKIP_1) | instid1(VALU_DEP_2)
	v_mul_f16_e32 v6, v4, v5
	v_mul_f16_e32 v5, v3, v5
	v_fmac_f16_e32 v6, v3, v2
	s_delay_alu instid0(VALU_DEP_2) | instskip(NEXT) | instid1(VALU_DEP_2)
	v_fma_f16 v2, v2, v4, -v5
	v_cvt_f32_f16_e32 v3, v6
	s_delay_alu instid0(VALU_DEP_2) | instskip(NEXT) | instid1(VALU_DEP_2)
	v_cvt_f32_f16_e32 v4, v2
	v_cvt_f64_f32_e32 v[2:3], v3
	s_delay_alu instid0(VALU_DEP_2) | instskip(NEXT) | instid1(VALU_DEP_2)
	v_cvt_f64_f32_e32 v[4:5], v4
	v_mul_f64_e32 v[2:3], s[8:9], v[2:3]
	s_delay_alu instid0(VALU_DEP_2) | instskip(NEXT) | instid1(VALU_DEP_2)
	v_mul_f64_e32 v[4:5], s[8:9], v[4:5]
	v_and_or_b32 v2, 0x1ff, v3, v2
	s_delay_alu instid0(VALU_DEP_2)
	v_and_or_b32 v4, 0x1ff, v5, v4
	v_lshrrev_b32_e32 v6, 8, v3
	v_bfe_u32 v7, v3, 20, 11
	v_lshrrev_b32_e32 v8, 8, v5
	v_cmp_ne_u32_e32 vcc_lo, 0, v2
	v_bfe_u32 v9, v5, 20, 11
	v_lshrrev_b32_e32 v3, 16, v3
	v_sub_nc_u32_e32 v10, 0x3f1, v7
	v_add_nc_u32_e32 v7, 0xfffffc10, v7
	s_wait_alu 0xfffd
	v_cndmask_b32_e64 v2, 0, 1, vcc_lo
	v_cmp_ne_u32_e32 vcc_lo, 0, v4
	v_lshrrev_b32_e32 v5, 16, v5
	s_delay_alu instid0(VALU_DEP_3) | instskip(SKIP_3) | instid1(VALU_DEP_2)
	v_and_or_b32 v2, 0xffe, v6, v2
	s_wait_alu 0xfffd
	v_cndmask_b32_e64 v4, 0, 1, vcc_lo
	v_sub_nc_u32_e32 v6, 0x3f1, v9
	v_and_or_b32 v4, 0xffe, v8, v4
	v_med3_i32 v8, v10, 0, 13
	v_or_b32_e32 v10, 0x1000, v2
	s_delay_alu instid0(VALU_DEP_4) | instskip(NEXT) | instid1(VALU_DEP_4)
	v_med3_i32 v6, v6, 0, 13
	v_or_b32_e32 v11, 0x1000, v4
	s_delay_alu instid0(VALU_DEP_3) | instskip(NEXT) | instid1(VALU_DEP_2)
	v_lshrrev_b32_e32 v12, v8, v10
	v_lshrrev_b32_e32 v13, v6, v11
	s_delay_alu instid0(VALU_DEP_2) | instskip(NEXT) | instid1(VALU_DEP_2)
	v_lshlrev_b32_e32 v8, v8, v12
	v_lshlrev_b32_e32 v6, v6, v13
	s_delay_alu instid0(VALU_DEP_2) | instskip(SKIP_4) | instid1(VALU_DEP_2)
	v_cmp_ne_u32_e32 vcc_lo, v8, v10
	v_lshl_or_b32 v10, v7, 12, v2
	s_wait_alu 0xfffd
	v_cndmask_b32_e64 v8, 0, 1, vcc_lo
	v_cmp_ne_u32_e32 vcc_lo, v6, v11
	v_or_b32_e32 v8, v12, v8
	s_wait_alu 0xfffd
	v_cndmask_b32_e64 v6, 0, 1, vcc_lo
	v_cmp_gt_i32_e32 vcc_lo, 1, v7
	v_add_nc_u32_e32 v9, 0xfffffc10, v9
	s_delay_alu instid0(VALU_DEP_3) | instskip(SKIP_2) | instid1(VALU_DEP_3)
	v_or_b32_e32 v6, v13, v6
	s_wait_alu 0xfffd
	v_cndmask_b32_e32 v8, v10, v8, vcc_lo
	v_lshl_or_b32 v11, v9, 12, v4
	v_cmp_gt_i32_e32 vcc_lo, 1, v9
	s_delay_alu instid0(VALU_DEP_3)
	v_and_b32_e32 v10, 7, v8
	v_lshrrev_b32_e32 v8, 2, v8
	s_wait_alu 0xfffd
	v_cndmask_b32_e32 v6, v11, v6, vcc_lo
	v_cmp_ne_u32_e32 vcc_lo, 0, v2
	v_cmp_eq_u32_e64 s0, 3, v10
	s_wait_alu 0xfffd
	v_cndmask_b32_e64 v2, 0, 1, vcc_lo
	v_cmp_ne_u32_e32 vcc_lo, 0, v4
	s_delay_alu instid0(VALU_DEP_2) | instskip(SKIP_3) | instid1(VALU_DEP_2)
	v_lshl_or_b32 v2, v2, 9, 0x7c00
	s_wait_alu 0xfffd
	v_cndmask_b32_e64 v4, 0, 1, vcc_lo
	v_cmp_lt_i32_e32 vcc_lo, 5, v10
	v_lshl_or_b32 v4, v4, 9, 0x7c00
	s_or_b32 vcc_lo, s0, vcc_lo
	s_wait_alu 0xfffe
	v_add_co_ci_u32_e32 v8, vcc_lo, 0, v8, vcc_lo
	v_and_b32_e32 v11, 7, v6
	v_lshrrev_b32_e32 v6, 2, v6
	s_delay_alu instid0(VALU_DEP_2) | instskip(SKIP_1) | instid1(VALU_DEP_1)
	v_cmp_lt_i32_e64 s1, 5, v11
	v_cmp_eq_u32_e64 s2, 3, v11
	s_or_b32 vcc_lo, s2, s1
	s_wait_alu 0xfffe
	v_add_co_ci_u32_e32 v6, vcc_lo, 0, v6, vcc_lo
	v_cmp_gt_i32_e32 vcc_lo, 31, v7
	s_wait_alu 0xfffd
	v_cndmask_b32_e32 v8, 0x7c00, v8, vcc_lo
	v_cmp_gt_i32_e32 vcc_lo, 31, v9
	s_wait_alu 0xfffd
	v_cndmask_b32_e32 v6, 0x7c00, v6, vcc_lo
	v_cmp_eq_u32_e32 vcc_lo, 0x40f, v7
	s_wait_alu 0xfffd
	v_cndmask_b32_e32 v2, v8, v2, vcc_lo
	v_cmp_eq_u32_e32 vcc_lo, 0x40f, v9
	s_delay_alu instid0(VALU_DEP_2)
	v_and_or_b32 v2, 0x8000, v3, v2
	s_wait_alu 0xfffd
	v_cndmask_b32_e32 v4, v6, v4, vcc_lo
	v_add_co_u32 v0, vcc_lo, v0, s6
	s_wait_alu 0xfffd
	v_add_co_ci_u32_e32 v1, vcc_lo, s7, v1, vcc_lo
	s_delay_alu instid0(VALU_DEP_3) | instskip(SKIP_1) | instid1(VALU_DEP_1)
	v_and_or_b32 v3, 0x8000, v5, v4
	v_and_b32_e32 v2, 0xffff, v2
	v_lshl_or_b32 v2, v3, 16, v2
	global_store_b32 v[0:1], v2, off
	global_load_b32 v4, v[24:25], off offset:1640
	ds_load_2addr_b32 v[2:3], v29 offset0:26 offset1:176
	s_wait_dscnt 0x0
	v_lshrrev_b32_e32 v5, 16, v2
	s_wait_loadcnt 0x0
	v_lshrrev_b32_e32 v6, 16, v4
	s_delay_alu instid0(VALU_DEP_1) | instskip(SKIP_1) | instid1(VALU_DEP_2)
	v_mul_f16_e32 v7, v5, v6
	v_mul_f16_e32 v6, v2, v6
	v_fmac_f16_e32 v7, v2, v4
	s_delay_alu instid0(VALU_DEP_2) | instskip(NEXT) | instid1(VALU_DEP_2)
	v_fma_f16 v2, v4, v5, -v6
	v_cvt_f32_f16_e32 v4, v7
	s_delay_alu instid0(VALU_DEP_2) | instskip(NEXT) | instid1(VALU_DEP_2)
	v_cvt_f32_f16_e32 v2, v2
	v_cvt_f64_f32_e32 v[4:5], v4
	s_delay_alu instid0(VALU_DEP_2) | instskip(NEXT) | instid1(VALU_DEP_2)
	v_cvt_f64_f32_e32 v[6:7], v2
	v_mul_f64_e32 v[4:5], s[8:9], v[4:5]
	s_delay_alu instid0(VALU_DEP_2) | instskip(NEXT) | instid1(VALU_DEP_2)
	v_mul_f64_e32 v[6:7], s[8:9], v[6:7]
	v_and_or_b32 v2, 0x1ff, v5, v4
	s_delay_alu instid0(VALU_DEP_2)
	v_and_or_b32 v6, 0x1ff, v7, v6
	v_lshrrev_b32_e32 v4, 8, v5
	v_bfe_u32 v8, v5, 20, 11
	v_lshrrev_b32_e32 v9, 8, v7
	v_cmp_ne_u32_e32 vcc_lo, 0, v2
	v_bfe_u32 v10, v7, 20, 11
	v_lshrrev_b32_e32 v5, 16, v5
	v_sub_nc_u32_e32 v11, 0x3f1, v8
	v_add_nc_u32_e32 v8, 0xfffffc10, v8
	s_wait_alu 0xfffd
	v_cndmask_b32_e64 v2, 0, 1, vcc_lo
	v_cmp_ne_u32_e32 vcc_lo, 0, v6
	v_lshrrev_b32_e32 v7, 16, v7
	s_delay_alu instid0(VALU_DEP_3) | instskip(SKIP_4) | instid1(VALU_DEP_3)
	v_and_or_b32 v2, 0xffe, v4, v2
	s_wait_alu 0xfffd
	v_cndmask_b32_e64 v6, 0, 1, vcc_lo
	v_sub_nc_u32_e32 v4, 0x3f1, v10
	v_add_nc_u32_e32 v10, 0xfffffc10, v10
	v_and_or_b32 v6, 0xffe, v9, v6
	v_med3_i32 v9, v11, 0, 13
	v_or_b32_e32 v11, 0x1000, v2
	v_med3_i32 v4, v4, 0, 13
	s_delay_alu instid0(VALU_DEP_4) | instskip(NEXT) | instid1(VALU_DEP_3)
	v_or_b32_e32 v12, 0x1000, v6
	v_lshrrev_b32_e32 v13, v9, v11
	s_delay_alu instid0(VALU_DEP_2) | instskip(NEXT) | instid1(VALU_DEP_2)
	v_lshrrev_b32_e32 v14, v4, v12
	v_lshlrev_b32_e32 v9, v9, v13
	s_delay_alu instid0(VALU_DEP_2) | instskip(NEXT) | instid1(VALU_DEP_2)
	v_lshlrev_b32_e32 v4, v4, v14
	v_cmp_ne_u32_e32 vcc_lo, v9, v11
	v_lshl_or_b32 v11, v8, 12, v2
	s_wait_alu 0xfffd
	v_cndmask_b32_e64 v9, 0, 1, vcc_lo
	v_cmp_ne_u32_e32 vcc_lo, v4, v12
	v_lshl_or_b32 v12, v10, 12, v6
	s_delay_alu instid0(VALU_DEP_3) | instskip(SKIP_3) | instid1(VALU_DEP_2)
	v_or_b32_e32 v9, v13, v9
	s_wait_alu 0xfffd
	v_cndmask_b32_e64 v4, 0, 1, vcc_lo
	v_cmp_gt_i32_e32 vcc_lo, 1, v8
	v_or_b32_e32 v4, v14, v4
	s_wait_alu 0xfffd
	v_cndmask_b32_e32 v9, v11, v9, vcc_lo
	v_cmp_gt_i32_e32 vcc_lo, 1, v10
	s_wait_alu 0xfffd
	s_delay_alu instid0(VALU_DEP_2) | instskip(SKIP_2) | instid1(VALU_DEP_3)
	v_dual_cndmask_b32 v4, v12, v4 :: v_dual_and_b32 v11, 7, v9
	v_cmp_ne_u32_e32 vcc_lo, 0, v2
	v_lshrrev_b32_e32 v9, 2, v9
	v_cmp_eq_u32_e64 s0, 3, v11
	s_delay_alu instid0(VALU_DEP_4)
	v_and_b32_e32 v12, 7, v4
	s_wait_alu 0xfffd
	v_cndmask_b32_e64 v2, 0, 1, vcc_lo
	v_cmp_ne_u32_e32 vcc_lo, 0, v6
	v_lshrrev_b32_e32 v4, 2, v4
	v_cmp_lt_i32_e64 s1, 5, v12
	v_cmp_eq_u32_e64 s2, 3, v12
	s_wait_alu 0xfffd
	v_cndmask_b32_e64 v6, 0, 1, vcc_lo
	v_cmp_lt_i32_e32 vcc_lo, 5, v11
	v_lshl_or_b32 v2, v2, 9, 0x7c00
	s_delay_alu instid0(VALU_DEP_3)
	v_lshl_or_b32 v6, v6, 9, 0x7c00
	s_or_b32 vcc_lo, s0, vcc_lo
	s_wait_alu 0xfffe
	v_add_co_ci_u32_e32 v9, vcc_lo, 0, v9, vcc_lo
	s_or_b32 vcc_lo, s2, s1
	s_wait_alu 0xfffe
	v_add_co_ci_u32_e32 v4, vcc_lo, 0, v4, vcc_lo
	v_cmp_gt_i32_e32 vcc_lo, 31, v8
	s_wait_alu 0xfffd
	v_cndmask_b32_e32 v9, 0x7c00, v9, vcc_lo
	v_cmp_gt_i32_e32 vcc_lo, 31, v10
	s_wait_alu 0xfffd
	v_cndmask_b32_e32 v4, 0x7c00, v4, vcc_lo
	v_cmp_eq_u32_e32 vcc_lo, 0x40f, v8
	s_wait_alu 0xfffd
	v_cndmask_b32_e32 v2, v9, v2, vcc_lo
	v_cmp_eq_u32_e32 vcc_lo, 0x40f, v10
	s_delay_alu instid0(VALU_DEP_2)
	v_and_or_b32 v2, 0x8000, v5, v2
	s_wait_alu 0xfffd
	v_cndmask_b32_e32 v4, v4, v6, vcc_lo
	v_add_co_u32 v0, vcc_lo, v0, s6
	s_wait_alu 0xfffd
	v_add_co_ci_u32_e32 v1, vcc_lo, s7, v1, vcc_lo
	s_delay_alu instid0(VALU_DEP_3) | instskip(SKIP_1) | instid1(VALU_DEP_1)
	v_and_or_b32 v4, 0x8000, v7, v4
	v_and_b32_e32 v2, 0xffff, v2
	v_lshl_or_b32 v2, v4, 16, v2
	v_lshrrev_b32_e32 v4, 16, v3
	global_store_b32 v[0:1], v2, off
	global_load_b32 v2, v[24:25], off offset:2240
	s_wait_loadcnt 0x0
	v_lshrrev_b32_e32 v5, 16, v2
	s_delay_alu instid0(VALU_DEP_1) | instskip(SKIP_1) | instid1(VALU_DEP_2)
	v_mul_f16_e32 v6, v4, v5
	v_mul_f16_e32 v5, v3, v5
	v_fmac_f16_e32 v6, v3, v2
	s_delay_alu instid0(VALU_DEP_2) | instskip(NEXT) | instid1(VALU_DEP_2)
	v_fma_f16 v2, v2, v4, -v5
	v_cvt_f32_f16_e32 v3, v6
	s_delay_alu instid0(VALU_DEP_2) | instskip(NEXT) | instid1(VALU_DEP_2)
	v_cvt_f32_f16_e32 v4, v2
	v_cvt_f64_f32_e32 v[2:3], v3
	s_delay_alu instid0(VALU_DEP_2) | instskip(NEXT) | instid1(VALU_DEP_2)
	v_cvt_f64_f32_e32 v[4:5], v4
	v_mul_f64_e32 v[2:3], s[8:9], v[2:3]
	s_delay_alu instid0(VALU_DEP_2) | instskip(NEXT) | instid1(VALU_DEP_2)
	v_mul_f64_e32 v[4:5], s[8:9], v[4:5]
	v_and_or_b32 v2, 0x1ff, v3, v2
	s_delay_alu instid0(VALU_DEP_2)
	v_and_or_b32 v4, 0x1ff, v5, v4
	v_lshrrev_b32_e32 v6, 8, v3
	v_bfe_u32 v7, v3, 20, 11
	v_lshrrev_b32_e32 v8, 8, v5
	v_cmp_ne_u32_e32 vcc_lo, 0, v2
	v_bfe_u32 v9, v5, 20, 11
	v_lshrrev_b32_e32 v3, 16, v3
	v_sub_nc_u32_e32 v10, 0x3f1, v7
	v_add_nc_u32_e32 v7, 0xfffffc10, v7
	s_wait_alu 0xfffd
	v_cndmask_b32_e64 v2, 0, 1, vcc_lo
	v_cmp_ne_u32_e32 vcc_lo, 0, v4
	v_lshrrev_b32_e32 v5, 16, v5
	s_delay_alu instid0(VALU_DEP_3) | instskip(SKIP_4) | instid1(VALU_DEP_3)
	v_and_or_b32 v2, 0xffe, v6, v2
	s_wait_alu 0xfffd
	v_cndmask_b32_e64 v4, 0, 1, vcc_lo
	v_sub_nc_u32_e32 v6, 0x3f1, v9
	v_add_nc_u32_e32 v9, 0xfffffc10, v9
	v_and_or_b32 v4, 0xffe, v8, v4
	v_med3_i32 v8, v10, 0, 13
	v_or_b32_e32 v10, 0x1000, v2
	v_med3_i32 v6, v6, 0, 13
	s_delay_alu instid0(VALU_DEP_4) | instskip(NEXT) | instid1(VALU_DEP_3)
	v_or_b32_e32 v11, 0x1000, v4
	v_lshrrev_b32_e32 v12, v8, v10
	s_delay_alu instid0(VALU_DEP_2) | instskip(NEXT) | instid1(VALU_DEP_2)
	v_lshrrev_b32_e32 v13, v6, v11
	v_lshlrev_b32_e32 v8, v8, v12
	s_delay_alu instid0(VALU_DEP_2) | instskip(NEXT) | instid1(VALU_DEP_2)
	v_lshlrev_b32_e32 v6, v6, v13
	v_cmp_ne_u32_e32 vcc_lo, v8, v10
	v_lshl_or_b32 v10, v7, 12, v2
	s_wait_alu 0xfffd
	v_cndmask_b32_e64 v8, 0, 1, vcc_lo
	v_cmp_ne_u32_e32 vcc_lo, v6, v11
	v_lshl_or_b32 v11, v9, 12, v4
	s_delay_alu instid0(VALU_DEP_3) | instskip(SKIP_3) | instid1(VALU_DEP_2)
	v_or_b32_e32 v8, v12, v8
	s_wait_alu 0xfffd
	v_cndmask_b32_e64 v6, 0, 1, vcc_lo
	v_cmp_gt_i32_e32 vcc_lo, 1, v7
	v_or_b32_e32 v6, v13, v6
	s_wait_alu 0xfffd
	v_cndmask_b32_e32 v8, v10, v8, vcc_lo
	v_cmp_gt_i32_e32 vcc_lo, 1, v9
	s_delay_alu instid0(VALU_DEP_2)
	v_and_b32_e32 v10, 7, v8
	s_wait_alu 0xfffd
	v_cndmask_b32_e32 v6, v11, v6, vcc_lo
	v_cmp_ne_u32_e32 vcc_lo, 0, v2
	v_lshrrev_b32_e32 v8, 2, v8
	v_cmp_eq_u32_e64 s0, 3, v10
	s_delay_alu instid0(VALU_DEP_4)
	v_and_b32_e32 v11, 7, v6
	s_wait_alu 0xfffd
	v_cndmask_b32_e64 v2, 0, 1, vcc_lo
	v_cmp_ne_u32_e32 vcc_lo, 0, v4
	v_lshrrev_b32_e32 v6, 2, v6
	v_cmp_lt_i32_e64 s1, 5, v11
	v_cmp_eq_u32_e64 s2, 3, v11
	s_wait_alu 0xfffd
	v_cndmask_b32_e64 v4, 0, 1, vcc_lo
	v_cmp_lt_i32_e32 vcc_lo, 5, v10
	v_lshl_or_b32 v2, v2, 9, 0x7c00
	s_delay_alu instid0(VALU_DEP_3)
	v_lshl_or_b32 v4, v4, 9, 0x7c00
	s_or_b32 vcc_lo, s0, vcc_lo
	s_wait_alu 0xfffe
	v_add_co_ci_u32_e32 v8, vcc_lo, 0, v8, vcc_lo
	s_or_b32 vcc_lo, s2, s1
	s_wait_alu 0xfffe
	v_add_co_ci_u32_e32 v6, vcc_lo, 0, v6, vcc_lo
	v_cmp_gt_i32_e32 vcc_lo, 31, v7
	s_wait_alu 0xfffd
	v_cndmask_b32_e32 v8, 0x7c00, v8, vcc_lo
	v_cmp_gt_i32_e32 vcc_lo, 31, v9
	s_wait_alu 0xfffd
	v_cndmask_b32_e32 v6, 0x7c00, v6, vcc_lo
	v_cmp_eq_u32_e32 vcc_lo, 0x40f, v7
	s_wait_alu 0xfffd
	v_cndmask_b32_e32 v2, v8, v2, vcc_lo
	v_cmp_eq_u32_e32 vcc_lo, 0x40f, v9
	s_delay_alu instid0(VALU_DEP_2)
	v_and_or_b32 v2, 0x8000, v3, v2
	s_wait_alu 0xfffd
	v_cndmask_b32_e32 v4, v6, v4, vcc_lo
	v_add_co_u32 v0, vcc_lo, v0, s6
	s_wait_alu 0xfffd
	v_add_co_ci_u32_e32 v1, vcc_lo, s7, v1, vcc_lo
	s_delay_alu instid0(VALU_DEP_3) | instskip(SKIP_1) | instid1(VALU_DEP_1)
	v_and_or_b32 v3, 0x8000, v5, v4
	v_and_b32_e32 v2, 0xffff, v2
	v_lshl_or_b32 v2, v3, 16, v2
	global_store_b32 v[0:1], v2, off
	global_load_b32 v4, v[24:25], off offset:2840
	ds_load_2addr_b32 v[2:3], v28 offset0:70 offset1:220
	s_wait_dscnt 0x0
	v_lshrrev_b32_e32 v5, 16, v2
	s_wait_loadcnt 0x0
	v_lshrrev_b32_e32 v6, 16, v4
	s_delay_alu instid0(VALU_DEP_1) | instskip(SKIP_1) | instid1(VALU_DEP_2)
	v_mul_f16_e32 v7, v5, v6
	v_mul_f16_e32 v6, v2, v6
	v_fmac_f16_e32 v7, v2, v4
	s_delay_alu instid0(VALU_DEP_2) | instskip(NEXT) | instid1(VALU_DEP_2)
	v_fma_f16 v2, v4, v5, -v6
	v_cvt_f32_f16_e32 v4, v7
	s_delay_alu instid0(VALU_DEP_2) | instskip(NEXT) | instid1(VALU_DEP_2)
	v_cvt_f32_f16_e32 v2, v2
	v_cvt_f64_f32_e32 v[4:5], v4
	s_delay_alu instid0(VALU_DEP_2) | instskip(NEXT) | instid1(VALU_DEP_2)
	v_cvt_f64_f32_e32 v[6:7], v2
	v_mul_f64_e32 v[4:5], s[8:9], v[4:5]
	s_delay_alu instid0(VALU_DEP_2) | instskip(NEXT) | instid1(VALU_DEP_2)
	v_mul_f64_e32 v[6:7], s[8:9], v[6:7]
	v_and_or_b32 v2, 0x1ff, v5, v4
	s_delay_alu instid0(VALU_DEP_2)
	v_and_or_b32 v6, 0x1ff, v7, v6
	v_lshrrev_b32_e32 v4, 8, v5
	v_bfe_u32 v8, v5, 20, 11
	v_lshrrev_b32_e32 v9, 8, v7
	v_cmp_ne_u32_e32 vcc_lo, 0, v2
	v_bfe_u32 v10, v7, 20, 11
	v_lshrrev_b32_e32 v5, 16, v5
	v_sub_nc_u32_e32 v11, 0x3f1, v8
	v_add_nc_u32_e32 v8, 0xfffffc10, v8
	s_wait_alu 0xfffd
	v_cndmask_b32_e64 v2, 0, 1, vcc_lo
	v_cmp_ne_u32_e32 vcc_lo, 0, v6
	v_lshrrev_b32_e32 v7, 16, v7
	s_delay_alu instid0(VALU_DEP_3) | instskip(SKIP_4) | instid1(VALU_DEP_3)
	v_and_or_b32 v2, 0xffe, v4, v2
	s_wait_alu 0xfffd
	v_cndmask_b32_e64 v6, 0, 1, vcc_lo
	v_sub_nc_u32_e32 v4, 0x3f1, v10
	v_add_nc_u32_e32 v10, 0xfffffc10, v10
	v_and_or_b32 v6, 0xffe, v9, v6
	v_med3_i32 v9, v11, 0, 13
	v_or_b32_e32 v11, 0x1000, v2
	v_med3_i32 v4, v4, 0, 13
	s_delay_alu instid0(VALU_DEP_4) | instskip(NEXT) | instid1(VALU_DEP_3)
	v_or_b32_e32 v12, 0x1000, v6
	v_lshrrev_b32_e32 v13, v9, v11
	s_delay_alu instid0(VALU_DEP_2) | instskip(NEXT) | instid1(VALU_DEP_2)
	v_lshrrev_b32_e32 v14, v4, v12
	v_lshlrev_b32_e32 v9, v9, v13
	s_delay_alu instid0(VALU_DEP_2) | instskip(NEXT) | instid1(VALU_DEP_2)
	v_lshlrev_b32_e32 v4, v4, v14
	v_cmp_ne_u32_e32 vcc_lo, v9, v11
	v_lshl_or_b32 v11, v8, 12, v2
	s_wait_alu 0xfffd
	v_cndmask_b32_e64 v9, 0, 1, vcc_lo
	v_cmp_ne_u32_e32 vcc_lo, v4, v12
	v_lshl_or_b32 v12, v10, 12, v6
	s_delay_alu instid0(VALU_DEP_3) | instskip(SKIP_3) | instid1(VALU_DEP_2)
	v_or_b32_e32 v9, v13, v9
	s_wait_alu 0xfffd
	v_cndmask_b32_e64 v4, 0, 1, vcc_lo
	v_cmp_gt_i32_e32 vcc_lo, 1, v8
	v_or_b32_e32 v4, v14, v4
	s_wait_alu 0xfffd
	v_cndmask_b32_e32 v9, v11, v9, vcc_lo
	v_cmp_gt_i32_e32 vcc_lo, 1, v10
	s_wait_alu 0xfffd
	s_delay_alu instid0(VALU_DEP_2) | instskip(SKIP_2) | instid1(VALU_DEP_3)
	v_dual_cndmask_b32 v4, v12, v4 :: v_dual_and_b32 v11, 7, v9
	v_cmp_ne_u32_e32 vcc_lo, 0, v2
	v_lshrrev_b32_e32 v9, 2, v9
	v_cmp_eq_u32_e64 s0, 3, v11
	s_delay_alu instid0(VALU_DEP_4)
	v_and_b32_e32 v12, 7, v4
	s_wait_alu 0xfffd
	v_cndmask_b32_e64 v2, 0, 1, vcc_lo
	v_cmp_ne_u32_e32 vcc_lo, 0, v6
	v_lshrrev_b32_e32 v4, 2, v4
	v_cmp_lt_i32_e64 s1, 5, v12
	v_cmp_eq_u32_e64 s2, 3, v12
	s_wait_alu 0xfffd
	v_cndmask_b32_e64 v6, 0, 1, vcc_lo
	v_cmp_lt_i32_e32 vcc_lo, 5, v11
	v_lshl_or_b32 v2, v2, 9, 0x7c00
	s_delay_alu instid0(VALU_DEP_3)
	v_lshl_or_b32 v6, v6, 9, 0x7c00
	s_or_b32 vcc_lo, s0, vcc_lo
	s_wait_alu 0xfffe
	v_add_co_ci_u32_e32 v9, vcc_lo, 0, v9, vcc_lo
	s_or_b32 vcc_lo, s2, s1
	s_wait_alu 0xfffe
	v_add_co_ci_u32_e32 v4, vcc_lo, 0, v4, vcc_lo
	v_cmp_gt_i32_e32 vcc_lo, 31, v8
	s_wait_alu 0xfffd
	v_cndmask_b32_e32 v9, 0x7c00, v9, vcc_lo
	v_cmp_gt_i32_e32 vcc_lo, 31, v10
	s_wait_alu 0xfffd
	v_cndmask_b32_e32 v4, 0x7c00, v4, vcc_lo
	v_cmp_eq_u32_e32 vcc_lo, 0x40f, v8
	s_wait_alu 0xfffd
	v_cndmask_b32_e32 v2, v9, v2, vcc_lo
	v_cmp_eq_u32_e32 vcc_lo, 0x40f, v10
	s_delay_alu instid0(VALU_DEP_2)
	v_and_or_b32 v2, 0x8000, v5, v2
	s_wait_alu 0xfffd
	v_cndmask_b32_e32 v4, v4, v6, vcc_lo
	v_add_co_u32 v0, vcc_lo, v0, s6
	s_wait_alu 0xfffd
	v_add_co_ci_u32_e32 v1, vcc_lo, s7, v1, vcc_lo
	s_delay_alu instid0(VALU_DEP_3) | instskip(SKIP_1) | instid1(VALU_DEP_1)
	v_and_or_b32 v4, 0x8000, v7, v4
	v_and_b32_e32 v2, 0xffff, v2
	v_lshl_or_b32 v2, v4, 16, v2
	v_lshrrev_b32_e32 v4, 16, v3
	global_store_b32 v[0:1], v2, off
	global_load_b32 v2, v[24:25], off offset:3440
	s_wait_loadcnt 0x0
	v_lshrrev_b32_e32 v5, 16, v2
	s_delay_alu instid0(VALU_DEP_1) | instskip(SKIP_1) | instid1(VALU_DEP_2)
	v_mul_f16_e32 v6, v4, v5
	v_mul_f16_e32 v5, v3, v5
	v_fmac_f16_e32 v6, v3, v2
	s_delay_alu instid0(VALU_DEP_2) | instskip(NEXT) | instid1(VALU_DEP_2)
	v_fma_f16 v2, v2, v4, -v5
	v_cvt_f32_f16_e32 v3, v6
	s_delay_alu instid0(VALU_DEP_2) | instskip(NEXT) | instid1(VALU_DEP_2)
	v_cvt_f32_f16_e32 v4, v2
	v_cvt_f64_f32_e32 v[2:3], v3
	s_delay_alu instid0(VALU_DEP_2) | instskip(NEXT) | instid1(VALU_DEP_2)
	v_cvt_f64_f32_e32 v[4:5], v4
	v_mul_f64_e32 v[2:3], s[8:9], v[2:3]
	s_delay_alu instid0(VALU_DEP_2) | instskip(NEXT) | instid1(VALU_DEP_2)
	v_mul_f64_e32 v[4:5], s[8:9], v[4:5]
	v_and_or_b32 v2, 0x1ff, v3, v2
	s_delay_alu instid0(VALU_DEP_2)
	v_and_or_b32 v4, 0x1ff, v5, v4
	v_lshrrev_b32_e32 v6, 8, v3
	v_bfe_u32 v7, v3, 20, 11
	v_lshrrev_b32_e32 v8, 8, v5
	v_cmp_ne_u32_e32 vcc_lo, 0, v2
	v_bfe_u32 v9, v5, 20, 11
	v_lshrrev_b32_e32 v3, 16, v3
	v_sub_nc_u32_e32 v10, 0x3f1, v7
	v_add_nc_u32_e32 v7, 0xfffffc10, v7
	s_wait_alu 0xfffd
	v_cndmask_b32_e64 v2, 0, 1, vcc_lo
	v_cmp_ne_u32_e32 vcc_lo, 0, v4
	v_lshrrev_b32_e32 v5, 16, v5
	s_delay_alu instid0(VALU_DEP_3) | instskip(SKIP_4) | instid1(VALU_DEP_3)
	v_and_or_b32 v2, 0xffe, v6, v2
	s_wait_alu 0xfffd
	v_cndmask_b32_e64 v4, 0, 1, vcc_lo
	v_sub_nc_u32_e32 v6, 0x3f1, v9
	v_add_nc_u32_e32 v9, 0xfffffc10, v9
	v_and_or_b32 v4, 0xffe, v8, v4
	v_med3_i32 v8, v10, 0, 13
	v_or_b32_e32 v10, 0x1000, v2
	v_med3_i32 v6, v6, 0, 13
	s_delay_alu instid0(VALU_DEP_4) | instskip(NEXT) | instid1(VALU_DEP_3)
	v_or_b32_e32 v11, 0x1000, v4
	v_lshrrev_b32_e32 v12, v8, v10
	s_delay_alu instid0(VALU_DEP_2) | instskip(NEXT) | instid1(VALU_DEP_2)
	v_lshrrev_b32_e32 v13, v6, v11
	v_lshlrev_b32_e32 v8, v8, v12
	s_delay_alu instid0(VALU_DEP_2) | instskip(NEXT) | instid1(VALU_DEP_2)
	v_lshlrev_b32_e32 v6, v6, v13
	v_cmp_ne_u32_e32 vcc_lo, v8, v10
	v_lshl_or_b32 v10, v7, 12, v2
	s_wait_alu 0xfffd
	v_cndmask_b32_e64 v8, 0, 1, vcc_lo
	v_cmp_ne_u32_e32 vcc_lo, v6, v11
	v_lshl_or_b32 v11, v9, 12, v4
	s_delay_alu instid0(VALU_DEP_3) | instskip(SKIP_3) | instid1(VALU_DEP_2)
	v_or_b32_e32 v8, v12, v8
	s_wait_alu 0xfffd
	v_cndmask_b32_e64 v6, 0, 1, vcc_lo
	v_cmp_gt_i32_e32 vcc_lo, 1, v7
	v_or_b32_e32 v6, v13, v6
	s_wait_alu 0xfffd
	v_cndmask_b32_e32 v8, v10, v8, vcc_lo
	v_cmp_gt_i32_e32 vcc_lo, 1, v9
	s_delay_alu instid0(VALU_DEP_2)
	v_and_b32_e32 v10, 7, v8
	s_wait_alu 0xfffd
	v_cndmask_b32_e32 v6, v11, v6, vcc_lo
	v_cmp_ne_u32_e32 vcc_lo, 0, v2
	v_lshrrev_b32_e32 v8, 2, v8
	v_cmp_eq_u32_e64 s0, 3, v10
	s_delay_alu instid0(VALU_DEP_4)
	v_and_b32_e32 v11, 7, v6
	s_wait_alu 0xfffd
	v_cndmask_b32_e64 v2, 0, 1, vcc_lo
	v_cmp_ne_u32_e32 vcc_lo, 0, v4
	v_lshrrev_b32_e32 v6, 2, v6
	v_cmp_lt_i32_e64 s1, 5, v11
	v_cmp_eq_u32_e64 s2, 3, v11
	s_wait_alu 0xfffd
	v_cndmask_b32_e64 v4, 0, 1, vcc_lo
	v_cmp_lt_i32_e32 vcc_lo, 5, v10
	v_lshl_or_b32 v2, v2, 9, 0x7c00
	s_delay_alu instid0(VALU_DEP_3)
	v_lshl_or_b32 v4, v4, 9, 0x7c00
	s_or_b32 vcc_lo, s0, vcc_lo
	s_wait_alu 0xfffe
	v_add_co_ci_u32_e32 v8, vcc_lo, 0, v8, vcc_lo
	s_or_b32 vcc_lo, s2, s1
	s_wait_alu 0xfffe
	v_add_co_ci_u32_e32 v6, vcc_lo, 0, v6, vcc_lo
	v_cmp_gt_i32_e32 vcc_lo, 31, v7
	s_wait_alu 0xfffd
	v_cndmask_b32_e32 v8, 0x7c00, v8, vcc_lo
	v_cmp_gt_i32_e32 vcc_lo, 31, v9
	s_wait_alu 0xfffd
	v_cndmask_b32_e32 v6, 0x7c00, v6, vcc_lo
	v_cmp_eq_u32_e32 vcc_lo, 0x40f, v7
	s_wait_alu 0xfffd
	v_cndmask_b32_e32 v2, v8, v2, vcc_lo
	v_cmp_eq_u32_e32 vcc_lo, 0x40f, v9
	s_delay_alu instid0(VALU_DEP_2)
	v_and_or_b32 v2, 0x8000, v3, v2
	s_wait_alu 0xfffd
	v_cndmask_b32_e32 v4, v6, v4, vcc_lo
	v_add_co_u32 v0, vcc_lo, v0, s6
	s_wait_alu 0xfffd
	v_add_co_ci_u32_e32 v1, vcc_lo, s7, v1, vcc_lo
	s_delay_alu instid0(VALU_DEP_3) | instskip(SKIP_1) | instid1(VALU_DEP_1)
	v_and_or_b32 v3, 0x8000, v5, v4
	v_and_b32_e32 v2, 0xffff, v2
	v_lshl_or_b32 v2, v3, 16, v2
	global_store_b32 v[0:1], v2, off
	global_load_b32 v4, v[24:25], off offset:4040
	v_add_nc_u32_e32 v2, 0xf00, v57
	ds_load_2addr_b32 v[2:3], v2 offset0:50 offset1:200
	s_wait_dscnt 0x0
	v_lshrrev_b32_e32 v5, 16, v2
	s_wait_loadcnt 0x0
	v_lshrrev_b32_e32 v6, 16, v4
	s_delay_alu instid0(VALU_DEP_1) | instskip(SKIP_1) | instid1(VALU_DEP_2)
	v_mul_f16_e32 v7, v5, v6
	v_mul_f16_e32 v6, v2, v6
	v_fmac_f16_e32 v7, v2, v4
	s_delay_alu instid0(VALU_DEP_2) | instskip(NEXT) | instid1(VALU_DEP_2)
	v_fma_f16 v2, v4, v5, -v6
	v_cvt_f32_f16_e32 v4, v7
	s_delay_alu instid0(VALU_DEP_2) | instskip(NEXT) | instid1(VALU_DEP_2)
	v_cvt_f32_f16_e32 v2, v2
	v_cvt_f64_f32_e32 v[4:5], v4
	s_delay_alu instid0(VALU_DEP_2) | instskip(NEXT) | instid1(VALU_DEP_2)
	v_cvt_f64_f32_e32 v[6:7], v2
	v_mul_f64_e32 v[4:5], s[8:9], v[4:5]
	s_delay_alu instid0(VALU_DEP_2) | instskip(NEXT) | instid1(VALU_DEP_2)
	v_mul_f64_e32 v[6:7], s[8:9], v[6:7]
	v_and_or_b32 v2, 0x1ff, v5, v4
	s_delay_alu instid0(VALU_DEP_2)
	v_and_or_b32 v6, 0x1ff, v7, v6
	v_lshrrev_b32_e32 v4, 8, v5
	v_bfe_u32 v8, v5, 20, 11
	v_lshrrev_b32_e32 v9, 8, v7
	v_cmp_ne_u32_e32 vcc_lo, 0, v2
	v_bfe_u32 v10, v7, 20, 11
	v_lshrrev_b32_e32 v5, 16, v5
	v_sub_nc_u32_e32 v11, 0x3f1, v8
	v_add_nc_u32_e32 v8, 0xfffffc10, v8
	s_wait_alu 0xfffd
	v_cndmask_b32_e64 v2, 0, 1, vcc_lo
	v_cmp_ne_u32_e32 vcc_lo, 0, v6
	v_lshrrev_b32_e32 v7, 16, v7
	s_delay_alu instid0(VALU_DEP_3) | instskip(SKIP_4) | instid1(VALU_DEP_3)
	v_and_or_b32 v2, 0xffe, v4, v2
	s_wait_alu 0xfffd
	v_cndmask_b32_e64 v6, 0, 1, vcc_lo
	v_sub_nc_u32_e32 v4, 0x3f1, v10
	v_add_nc_u32_e32 v10, 0xfffffc10, v10
	v_and_or_b32 v6, 0xffe, v9, v6
	v_med3_i32 v9, v11, 0, 13
	v_or_b32_e32 v11, 0x1000, v2
	v_med3_i32 v4, v4, 0, 13
	s_delay_alu instid0(VALU_DEP_4) | instskip(NEXT) | instid1(VALU_DEP_3)
	v_or_b32_e32 v12, 0x1000, v6
	v_lshrrev_b32_e32 v13, v9, v11
	s_delay_alu instid0(VALU_DEP_2) | instskip(NEXT) | instid1(VALU_DEP_2)
	v_lshrrev_b32_e32 v14, v4, v12
	v_lshlrev_b32_e32 v9, v9, v13
	s_delay_alu instid0(VALU_DEP_2) | instskip(NEXT) | instid1(VALU_DEP_2)
	v_lshlrev_b32_e32 v4, v4, v14
	v_cmp_ne_u32_e32 vcc_lo, v9, v11
	v_lshl_or_b32 v11, v8, 12, v2
	s_wait_alu 0xfffd
	v_cndmask_b32_e64 v9, 0, 1, vcc_lo
	v_cmp_ne_u32_e32 vcc_lo, v4, v12
	v_lshl_or_b32 v12, v10, 12, v6
	s_delay_alu instid0(VALU_DEP_3) | instskip(SKIP_3) | instid1(VALU_DEP_2)
	v_or_b32_e32 v9, v13, v9
	s_wait_alu 0xfffd
	v_cndmask_b32_e64 v4, 0, 1, vcc_lo
	v_cmp_gt_i32_e32 vcc_lo, 1, v8
	v_or_b32_e32 v4, v14, v4
	s_wait_alu 0xfffd
	v_cndmask_b32_e32 v9, v11, v9, vcc_lo
	v_cmp_gt_i32_e32 vcc_lo, 1, v10
	s_wait_alu 0xfffd
	s_delay_alu instid0(VALU_DEP_2) | instskip(SKIP_2) | instid1(VALU_DEP_3)
	v_dual_cndmask_b32 v4, v12, v4 :: v_dual_and_b32 v11, 7, v9
	v_cmp_ne_u32_e32 vcc_lo, 0, v2
	v_lshrrev_b32_e32 v9, 2, v9
	v_cmp_eq_u32_e64 s0, 3, v11
	s_delay_alu instid0(VALU_DEP_4)
	v_and_b32_e32 v12, 7, v4
	s_wait_alu 0xfffd
	v_cndmask_b32_e64 v2, 0, 1, vcc_lo
	v_cmp_ne_u32_e32 vcc_lo, 0, v6
	v_lshrrev_b32_e32 v4, 2, v4
	v_cmp_lt_i32_e64 s1, 5, v12
	v_cmp_eq_u32_e64 s2, 3, v12
	s_wait_alu 0xfffd
	v_cndmask_b32_e64 v6, 0, 1, vcc_lo
	v_cmp_lt_i32_e32 vcc_lo, 5, v11
	v_lshl_or_b32 v2, v2, 9, 0x7c00
	s_delay_alu instid0(VALU_DEP_3)
	v_lshl_or_b32 v6, v6, 9, 0x7c00
	s_or_b32 vcc_lo, s0, vcc_lo
	s_wait_alu 0xfffe
	v_add_co_ci_u32_e32 v9, vcc_lo, 0, v9, vcc_lo
	s_or_b32 vcc_lo, s2, s1
	s_wait_alu 0xfffe
	v_add_co_ci_u32_e32 v4, vcc_lo, 0, v4, vcc_lo
	v_cmp_gt_i32_e32 vcc_lo, 31, v8
	s_wait_alu 0xfffd
	v_cndmask_b32_e32 v9, 0x7c00, v9, vcc_lo
	v_cmp_gt_i32_e32 vcc_lo, 31, v10
	s_wait_alu 0xfffd
	v_cndmask_b32_e32 v4, 0x7c00, v4, vcc_lo
	v_cmp_eq_u32_e32 vcc_lo, 0x40f, v8
	s_wait_alu 0xfffd
	v_cndmask_b32_e32 v2, v9, v2, vcc_lo
	v_cmp_eq_u32_e32 vcc_lo, 0x40f, v10
	s_delay_alu instid0(VALU_DEP_2)
	v_and_or_b32 v2, 0x8000, v5, v2
	s_wait_alu 0xfffd
	v_cndmask_b32_e32 v4, v4, v6, vcc_lo
	v_add_co_u32 v0, vcc_lo, v0, s6
	s_wait_alu 0xfffd
	v_add_co_ci_u32_e32 v1, vcc_lo, s7, v1, vcc_lo
	s_delay_alu instid0(VALU_DEP_3) | instskip(SKIP_1) | instid1(VALU_DEP_1)
	v_and_or_b32 v4, 0x8000, v7, v4
	v_and_b32_e32 v2, 0xffff, v2
	v_lshl_or_b32 v2, v4, 16, v2
	v_lshrrev_b32_e32 v4, 16, v3
	global_store_b32 v[0:1], v2, off
	global_load_b32 v2, v[24:25], off offset:4640
	s_wait_loadcnt 0x0
	v_lshrrev_b32_e32 v5, 16, v2
	s_delay_alu instid0(VALU_DEP_1) | instskip(SKIP_1) | instid1(VALU_DEP_2)
	v_mul_f16_e32 v6, v4, v5
	v_mul_f16_e32 v5, v3, v5
	v_fmac_f16_e32 v6, v3, v2
	s_delay_alu instid0(VALU_DEP_2) | instskip(NEXT) | instid1(VALU_DEP_2)
	v_fma_f16 v2, v2, v4, -v5
	v_cvt_f32_f16_e32 v3, v6
	s_delay_alu instid0(VALU_DEP_2) | instskip(NEXT) | instid1(VALU_DEP_2)
	v_cvt_f32_f16_e32 v4, v2
	v_cvt_f64_f32_e32 v[2:3], v3
	s_delay_alu instid0(VALU_DEP_2) | instskip(NEXT) | instid1(VALU_DEP_2)
	v_cvt_f64_f32_e32 v[4:5], v4
	v_mul_f64_e32 v[2:3], s[8:9], v[2:3]
	s_delay_alu instid0(VALU_DEP_2) | instskip(NEXT) | instid1(VALU_DEP_2)
	v_mul_f64_e32 v[4:5], s[8:9], v[4:5]
	v_and_or_b32 v2, 0x1ff, v3, v2
	s_delay_alu instid0(VALU_DEP_2)
	v_and_or_b32 v4, 0x1ff, v5, v4
	v_lshrrev_b32_e32 v6, 8, v3
	v_bfe_u32 v7, v3, 20, 11
	v_lshrrev_b32_e32 v8, 8, v5
	v_cmp_ne_u32_e32 vcc_lo, 0, v2
	v_bfe_u32 v9, v5, 20, 11
	v_lshrrev_b32_e32 v3, 16, v3
	v_sub_nc_u32_e32 v10, 0x3f1, v7
	v_add_nc_u32_e32 v7, 0xfffffc10, v7
	s_wait_alu 0xfffd
	v_cndmask_b32_e64 v2, 0, 1, vcc_lo
	v_cmp_ne_u32_e32 vcc_lo, 0, v4
	v_lshrrev_b32_e32 v5, 16, v5
	s_delay_alu instid0(VALU_DEP_3) | instskip(SKIP_4) | instid1(VALU_DEP_3)
	v_and_or_b32 v2, 0xffe, v6, v2
	s_wait_alu 0xfffd
	v_cndmask_b32_e64 v4, 0, 1, vcc_lo
	v_sub_nc_u32_e32 v6, 0x3f1, v9
	v_add_nc_u32_e32 v9, 0xfffffc10, v9
	v_and_or_b32 v4, 0xffe, v8, v4
	v_med3_i32 v8, v10, 0, 13
	v_or_b32_e32 v10, 0x1000, v2
	v_med3_i32 v6, v6, 0, 13
	s_delay_alu instid0(VALU_DEP_4) | instskip(NEXT) | instid1(VALU_DEP_3)
	v_or_b32_e32 v11, 0x1000, v4
	v_lshrrev_b32_e32 v12, v8, v10
	s_delay_alu instid0(VALU_DEP_2) | instskip(NEXT) | instid1(VALU_DEP_2)
	v_lshrrev_b32_e32 v13, v6, v11
	v_lshlrev_b32_e32 v8, v8, v12
	s_delay_alu instid0(VALU_DEP_2) | instskip(NEXT) | instid1(VALU_DEP_2)
	v_lshlrev_b32_e32 v6, v6, v13
	v_cmp_ne_u32_e32 vcc_lo, v8, v10
	v_lshl_or_b32 v10, v7, 12, v2
	s_wait_alu 0xfffd
	v_cndmask_b32_e64 v8, 0, 1, vcc_lo
	v_cmp_ne_u32_e32 vcc_lo, v6, v11
	v_lshl_or_b32 v11, v9, 12, v4
	s_delay_alu instid0(VALU_DEP_3) | instskip(SKIP_3) | instid1(VALU_DEP_2)
	v_or_b32_e32 v8, v12, v8
	s_wait_alu 0xfffd
	v_cndmask_b32_e64 v6, 0, 1, vcc_lo
	v_cmp_gt_i32_e32 vcc_lo, 1, v7
	v_or_b32_e32 v6, v13, v6
	s_wait_alu 0xfffd
	v_cndmask_b32_e32 v8, v10, v8, vcc_lo
	v_cmp_gt_i32_e32 vcc_lo, 1, v9
	s_delay_alu instid0(VALU_DEP_2)
	v_and_b32_e32 v10, 7, v8
	s_wait_alu 0xfffd
	v_cndmask_b32_e32 v6, v11, v6, vcc_lo
	v_cmp_ne_u32_e32 vcc_lo, 0, v2
	v_lshrrev_b32_e32 v8, 2, v8
	v_cmp_eq_u32_e64 s0, 3, v10
	s_delay_alu instid0(VALU_DEP_4)
	v_and_b32_e32 v11, 7, v6
	s_wait_alu 0xfffd
	v_cndmask_b32_e64 v2, 0, 1, vcc_lo
	v_cmp_ne_u32_e32 vcc_lo, 0, v4
	v_lshrrev_b32_e32 v6, 2, v6
	v_cmp_lt_i32_e64 s1, 5, v11
	v_cmp_eq_u32_e64 s2, 3, v11
	s_wait_alu 0xfffd
	v_cndmask_b32_e64 v4, 0, 1, vcc_lo
	v_cmp_lt_i32_e32 vcc_lo, 5, v10
	v_lshl_or_b32 v2, v2, 9, 0x7c00
	s_delay_alu instid0(VALU_DEP_3)
	v_lshl_or_b32 v4, v4, 9, 0x7c00
	s_or_b32 vcc_lo, s0, vcc_lo
	s_wait_alu 0xfffe
	v_add_co_ci_u32_e32 v8, vcc_lo, 0, v8, vcc_lo
	s_or_b32 vcc_lo, s2, s1
	s_wait_alu 0xfffe
	v_add_co_ci_u32_e32 v6, vcc_lo, 0, v6, vcc_lo
	v_cmp_gt_i32_e32 vcc_lo, 31, v7
	s_wait_alu 0xfffd
	v_cndmask_b32_e32 v8, 0x7c00, v8, vcc_lo
	v_cmp_gt_i32_e32 vcc_lo, 31, v9
	s_wait_alu 0xfffd
	v_cndmask_b32_e32 v6, 0x7c00, v6, vcc_lo
	v_cmp_eq_u32_e32 vcc_lo, 0x40f, v7
	s_wait_alu 0xfffd
	v_cndmask_b32_e32 v2, v8, v2, vcc_lo
	v_cmp_eq_u32_e32 vcc_lo, 0x40f, v9
	s_delay_alu instid0(VALU_DEP_2)
	v_and_or_b32 v2, 0x8000, v3, v2
	s_wait_alu 0xfffd
	v_cndmask_b32_e32 v4, v6, v4, vcc_lo
	v_add_co_u32 v0, vcc_lo, v0, s6
	s_wait_alu 0xfffd
	v_add_co_ci_u32_e32 v1, vcc_lo, s7, v1, vcc_lo
	s_delay_alu instid0(VALU_DEP_3) | instskip(SKIP_1) | instid1(VALU_DEP_1)
	v_and_or_b32 v3, 0x8000, v5, v4
	v_and_b32_e32 v2, 0xffff, v2
	v_lshl_or_b32 v2, v3, 16, v2
	global_store_b32 v[0:1], v2, off
	global_load_b32 v4, v[24:25], off offset:5240
	ds_load_2addr_b32 v[2:3], v27 offset0:30 offset1:180
	s_wait_dscnt 0x0
	v_lshrrev_b32_e32 v5, 16, v2
	s_wait_loadcnt 0x0
	v_lshrrev_b32_e32 v6, 16, v4
	s_delay_alu instid0(VALU_DEP_1) | instskip(SKIP_1) | instid1(VALU_DEP_2)
	v_mul_f16_e32 v7, v5, v6
	v_mul_f16_e32 v6, v2, v6
	v_fmac_f16_e32 v7, v2, v4
	s_delay_alu instid0(VALU_DEP_2) | instskip(NEXT) | instid1(VALU_DEP_2)
	v_fma_f16 v2, v4, v5, -v6
	v_cvt_f32_f16_e32 v4, v7
	s_delay_alu instid0(VALU_DEP_2) | instskip(NEXT) | instid1(VALU_DEP_2)
	v_cvt_f32_f16_e32 v2, v2
	v_cvt_f64_f32_e32 v[4:5], v4
	s_delay_alu instid0(VALU_DEP_2) | instskip(NEXT) | instid1(VALU_DEP_2)
	v_cvt_f64_f32_e32 v[6:7], v2
	v_mul_f64_e32 v[4:5], s[8:9], v[4:5]
	s_delay_alu instid0(VALU_DEP_2) | instskip(NEXT) | instid1(VALU_DEP_2)
	v_mul_f64_e32 v[6:7], s[8:9], v[6:7]
	v_and_or_b32 v2, 0x1ff, v5, v4
	s_delay_alu instid0(VALU_DEP_2)
	v_and_or_b32 v6, 0x1ff, v7, v6
	v_lshrrev_b32_e32 v4, 8, v5
	v_bfe_u32 v8, v5, 20, 11
	v_lshrrev_b32_e32 v9, 8, v7
	v_cmp_ne_u32_e32 vcc_lo, 0, v2
	v_bfe_u32 v10, v7, 20, 11
	v_lshrrev_b32_e32 v5, 16, v5
	v_sub_nc_u32_e32 v11, 0x3f1, v8
	v_add_nc_u32_e32 v8, 0xfffffc10, v8
	s_wait_alu 0xfffd
	v_cndmask_b32_e64 v2, 0, 1, vcc_lo
	v_cmp_ne_u32_e32 vcc_lo, 0, v6
	v_lshrrev_b32_e32 v7, 16, v7
	s_delay_alu instid0(VALU_DEP_3) | instskip(SKIP_4) | instid1(VALU_DEP_3)
	v_and_or_b32 v2, 0xffe, v4, v2
	s_wait_alu 0xfffd
	v_cndmask_b32_e64 v6, 0, 1, vcc_lo
	v_sub_nc_u32_e32 v4, 0x3f1, v10
	v_add_nc_u32_e32 v10, 0xfffffc10, v10
	v_and_or_b32 v6, 0xffe, v9, v6
	v_med3_i32 v9, v11, 0, 13
	v_or_b32_e32 v11, 0x1000, v2
	v_med3_i32 v4, v4, 0, 13
	s_delay_alu instid0(VALU_DEP_4) | instskip(NEXT) | instid1(VALU_DEP_3)
	v_or_b32_e32 v12, 0x1000, v6
	v_lshrrev_b32_e32 v13, v9, v11
	s_delay_alu instid0(VALU_DEP_2) | instskip(NEXT) | instid1(VALU_DEP_2)
	v_lshrrev_b32_e32 v14, v4, v12
	v_lshlrev_b32_e32 v9, v9, v13
	s_delay_alu instid0(VALU_DEP_2) | instskip(NEXT) | instid1(VALU_DEP_2)
	v_lshlrev_b32_e32 v4, v4, v14
	v_cmp_ne_u32_e32 vcc_lo, v9, v11
	v_lshl_or_b32 v11, v8, 12, v2
	s_wait_alu 0xfffd
	v_cndmask_b32_e64 v9, 0, 1, vcc_lo
	v_cmp_ne_u32_e32 vcc_lo, v4, v12
	v_lshl_or_b32 v12, v10, 12, v6
	s_delay_alu instid0(VALU_DEP_3) | instskip(SKIP_3) | instid1(VALU_DEP_2)
	v_or_b32_e32 v9, v13, v9
	s_wait_alu 0xfffd
	v_cndmask_b32_e64 v4, 0, 1, vcc_lo
	v_cmp_gt_i32_e32 vcc_lo, 1, v8
	v_or_b32_e32 v4, v14, v4
	s_wait_alu 0xfffd
	v_cndmask_b32_e32 v9, v11, v9, vcc_lo
	v_cmp_gt_i32_e32 vcc_lo, 1, v10
	s_wait_alu 0xfffd
	s_delay_alu instid0(VALU_DEP_2) | instskip(SKIP_2) | instid1(VALU_DEP_3)
	v_dual_cndmask_b32 v4, v12, v4 :: v_dual_and_b32 v11, 7, v9
	v_cmp_ne_u32_e32 vcc_lo, 0, v2
	v_lshrrev_b32_e32 v9, 2, v9
	v_cmp_eq_u32_e64 s0, 3, v11
	s_delay_alu instid0(VALU_DEP_4)
	v_and_b32_e32 v12, 7, v4
	s_wait_alu 0xfffd
	v_cndmask_b32_e64 v2, 0, 1, vcc_lo
	v_cmp_ne_u32_e32 vcc_lo, 0, v6
	v_lshrrev_b32_e32 v4, 2, v4
	v_cmp_lt_i32_e64 s1, 5, v12
	v_cmp_eq_u32_e64 s2, 3, v12
	s_wait_alu 0xfffd
	v_cndmask_b32_e64 v6, 0, 1, vcc_lo
	v_cmp_lt_i32_e32 vcc_lo, 5, v11
	v_lshl_or_b32 v2, v2, 9, 0x7c00
	s_delay_alu instid0(VALU_DEP_3)
	v_lshl_or_b32 v6, v6, 9, 0x7c00
	s_or_b32 vcc_lo, s0, vcc_lo
	s_wait_alu 0xfffe
	v_add_co_ci_u32_e32 v9, vcc_lo, 0, v9, vcc_lo
	s_or_b32 vcc_lo, s2, s1
	s_wait_alu 0xfffe
	v_add_co_ci_u32_e32 v4, vcc_lo, 0, v4, vcc_lo
	v_cmp_gt_i32_e32 vcc_lo, 31, v8
	s_wait_alu 0xfffd
	v_cndmask_b32_e32 v9, 0x7c00, v9, vcc_lo
	v_cmp_gt_i32_e32 vcc_lo, 31, v10
	s_wait_alu 0xfffd
	v_cndmask_b32_e32 v4, 0x7c00, v4, vcc_lo
	v_cmp_eq_u32_e32 vcc_lo, 0x40f, v8
	s_wait_alu 0xfffd
	v_cndmask_b32_e32 v2, v9, v2, vcc_lo
	v_cmp_eq_u32_e32 vcc_lo, 0x40f, v10
	s_delay_alu instid0(VALU_DEP_2)
	v_and_or_b32 v2, 0x8000, v5, v2
	s_wait_alu 0xfffd
	v_cndmask_b32_e32 v4, v4, v6, vcc_lo
	v_add_co_u32 v0, vcc_lo, v0, s6
	s_wait_alu 0xfffd
	v_add_co_ci_u32_e32 v1, vcc_lo, s7, v1, vcc_lo
	s_delay_alu instid0(VALU_DEP_3) | instskip(SKIP_1) | instid1(VALU_DEP_1)
	v_and_or_b32 v4, 0x8000, v7, v4
	v_and_b32_e32 v2, 0xffff, v2
	v_lshl_or_b32 v2, v4, 16, v2
	v_lshrrev_b32_e32 v4, 16, v3
	global_store_b32 v[0:1], v2, off
	global_load_b32 v2, v[24:25], off offset:5840
	s_wait_loadcnt 0x0
	v_lshrrev_b32_e32 v5, 16, v2
	s_delay_alu instid0(VALU_DEP_1) | instskip(SKIP_1) | instid1(VALU_DEP_2)
	v_mul_f16_e32 v6, v4, v5
	v_mul_f16_e32 v5, v3, v5
	v_fmac_f16_e32 v6, v3, v2
	s_delay_alu instid0(VALU_DEP_2) | instskip(NEXT) | instid1(VALU_DEP_2)
	v_fma_f16 v2, v2, v4, -v5
	v_cvt_f32_f16_e32 v3, v6
	s_delay_alu instid0(VALU_DEP_2) | instskip(NEXT) | instid1(VALU_DEP_2)
	v_cvt_f32_f16_e32 v4, v2
	v_cvt_f64_f32_e32 v[2:3], v3
	s_delay_alu instid0(VALU_DEP_2) | instskip(NEXT) | instid1(VALU_DEP_2)
	v_cvt_f64_f32_e32 v[4:5], v4
	v_mul_f64_e32 v[2:3], s[8:9], v[2:3]
	s_delay_alu instid0(VALU_DEP_2) | instskip(NEXT) | instid1(VALU_DEP_2)
	v_mul_f64_e32 v[4:5], s[8:9], v[4:5]
	v_and_or_b32 v2, 0x1ff, v3, v2
	s_delay_alu instid0(VALU_DEP_2)
	v_and_or_b32 v4, 0x1ff, v5, v4
	v_lshrrev_b32_e32 v6, 8, v3
	v_bfe_u32 v7, v3, 20, 11
	v_lshrrev_b32_e32 v8, 8, v5
	v_cmp_ne_u32_e32 vcc_lo, 0, v2
	v_bfe_u32 v9, v5, 20, 11
	v_lshrrev_b32_e32 v3, 16, v3
	v_sub_nc_u32_e32 v10, 0x3f1, v7
	v_add_nc_u32_e32 v7, 0xfffffc10, v7
	s_wait_alu 0xfffd
	v_cndmask_b32_e64 v2, 0, 1, vcc_lo
	v_cmp_ne_u32_e32 vcc_lo, 0, v4
	v_lshrrev_b32_e32 v5, 16, v5
	s_delay_alu instid0(VALU_DEP_3) | instskip(SKIP_4) | instid1(VALU_DEP_3)
	v_and_or_b32 v2, 0xffe, v6, v2
	s_wait_alu 0xfffd
	v_cndmask_b32_e64 v4, 0, 1, vcc_lo
	v_sub_nc_u32_e32 v6, 0x3f1, v9
	v_add_nc_u32_e32 v9, 0xfffffc10, v9
	v_and_or_b32 v4, 0xffe, v8, v4
	v_med3_i32 v8, v10, 0, 13
	v_or_b32_e32 v10, 0x1000, v2
	v_med3_i32 v6, v6, 0, 13
	s_delay_alu instid0(VALU_DEP_4) | instskip(NEXT) | instid1(VALU_DEP_3)
	v_or_b32_e32 v11, 0x1000, v4
	v_lshrrev_b32_e32 v12, v8, v10
	s_delay_alu instid0(VALU_DEP_2) | instskip(NEXT) | instid1(VALU_DEP_2)
	v_lshrrev_b32_e32 v13, v6, v11
	v_lshlrev_b32_e32 v8, v8, v12
	s_delay_alu instid0(VALU_DEP_2) | instskip(NEXT) | instid1(VALU_DEP_2)
	v_lshlrev_b32_e32 v6, v6, v13
	v_cmp_ne_u32_e32 vcc_lo, v8, v10
	v_lshl_or_b32 v10, v7, 12, v2
	s_wait_alu 0xfffd
	v_cndmask_b32_e64 v8, 0, 1, vcc_lo
	v_cmp_ne_u32_e32 vcc_lo, v6, v11
	v_lshl_or_b32 v11, v9, 12, v4
	s_delay_alu instid0(VALU_DEP_3) | instskip(SKIP_3) | instid1(VALU_DEP_2)
	v_or_b32_e32 v8, v12, v8
	s_wait_alu 0xfffd
	v_cndmask_b32_e64 v6, 0, 1, vcc_lo
	v_cmp_gt_i32_e32 vcc_lo, 1, v7
	v_or_b32_e32 v6, v13, v6
	s_wait_alu 0xfffd
	v_cndmask_b32_e32 v8, v10, v8, vcc_lo
	v_cmp_gt_i32_e32 vcc_lo, 1, v9
	s_delay_alu instid0(VALU_DEP_2)
	v_and_b32_e32 v10, 7, v8
	s_wait_alu 0xfffd
	v_cndmask_b32_e32 v6, v11, v6, vcc_lo
	v_cmp_ne_u32_e32 vcc_lo, 0, v2
	v_lshrrev_b32_e32 v8, 2, v8
	v_cmp_eq_u32_e64 s0, 3, v10
	s_delay_alu instid0(VALU_DEP_4)
	v_and_b32_e32 v11, 7, v6
	s_wait_alu 0xfffd
	v_cndmask_b32_e64 v2, 0, 1, vcc_lo
	v_cmp_ne_u32_e32 vcc_lo, 0, v4
	v_lshrrev_b32_e32 v6, 2, v6
	v_cmp_lt_i32_e64 s1, 5, v11
	v_cmp_eq_u32_e64 s2, 3, v11
	s_wait_alu 0xfffd
	v_cndmask_b32_e64 v4, 0, 1, vcc_lo
	v_cmp_lt_i32_e32 vcc_lo, 5, v10
	v_lshl_or_b32 v2, v2, 9, 0x7c00
	s_delay_alu instid0(VALU_DEP_3)
	v_lshl_or_b32 v4, v4, 9, 0x7c00
	s_or_b32 vcc_lo, s0, vcc_lo
	s_wait_alu 0xfffe
	v_add_co_ci_u32_e32 v8, vcc_lo, 0, v8, vcc_lo
	s_or_b32 vcc_lo, s2, s1
	s_wait_alu 0xfffe
	v_add_co_ci_u32_e32 v6, vcc_lo, 0, v6, vcc_lo
	v_cmp_gt_i32_e32 vcc_lo, 31, v7
	s_wait_alu 0xfffd
	v_cndmask_b32_e32 v8, 0x7c00, v8, vcc_lo
	v_cmp_gt_i32_e32 vcc_lo, 31, v9
	s_wait_alu 0xfffd
	v_cndmask_b32_e32 v6, 0x7c00, v6, vcc_lo
	v_cmp_eq_u32_e32 vcc_lo, 0x40f, v7
	s_wait_alu 0xfffd
	v_cndmask_b32_e32 v2, v8, v2, vcc_lo
	v_cmp_eq_u32_e32 vcc_lo, 0x40f, v9
	s_delay_alu instid0(VALU_DEP_2)
	v_and_or_b32 v2, 0x8000, v3, v2
	s_wait_alu 0xfffd
	v_cndmask_b32_e32 v4, v6, v4, vcc_lo
	v_add_co_u32 v0, vcc_lo, v0, s6
	s_wait_alu 0xfffd
	v_add_co_ci_u32_e32 v1, vcc_lo, s7, v1, vcc_lo
	s_delay_alu instid0(VALU_DEP_3) | instskip(SKIP_1) | instid1(VALU_DEP_1)
	v_and_or_b32 v3, 0x8000, v5, v4
	v_and_b32_e32 v2, 0xffff, v2
	v_lshl_or_b32 v2, v3, 16, v2
	ds_load_b32 v3, v57 offset:6440
	global_store_b32 v[0:1], v2, off
	global_load_b32 v2, v[24:25], off offset:6440
	s_wait_dscnt 0x0
	v_lshrrev_b32_e32 v4, 16, v3
	s_wait_loadcnt 0x0
	v_lshrrev_b32_e32 v5, 16, v2
	s_delay_alu instid0(VALU_DEP_1) | instskip(SKIP_1) | instid1(VALU_DEP_2)
	v_mul_f16_e32 v6, v4, v5
	v_mul_f16_e32 v5, v3, v5
	v_fmac_f16_e32 v6, v3, v2
	s_delay_alu instid0(VALU_DEP_2) | instskip(NEXT) | instid1(VALU_DEP_2)
	v_fma_f16 v2, v2, v4, -v5
	v_cvt_f32_f16_e32 v3, v6
	s_delay_alu instid0(VALU_DEP_2) | instskip(NEXT) | instid1(VALU_DEP_2)
	v_cvt_f32_f16_e32 v4, v2
	v_cvt_f64_f32_e32 v[2:3], v3
	s_delay_alu instid0(VALU_DEP_2) | instskip(NEXT) | instid1(VALU_DEP_2)
	v_cvt_f64_f32_e32 v[4:5], v4
	v_mul_f64_e32 v[2:3], s[8:9], v[2:3]
	s_delay_alu instid0(VALU_DEP_2) | instskip(NEXT) | instid1(VALU_DEP_2)
	v_mul_f64_e32 v[4:5], s[8:9], v[4:5]
	v_and_or_b32 v2, 0x1ff, v3, v2
	s_delay_alu instid0(VALU_DEP_2)
	v_and_or_b32 v4, 0x1ff, v5, v4
	v_lshrrev_b32_e32 v6, 8, v3
	v_bfe_u32 v7, v3, 20, 11
	v_lshrrev_b32_e32 v8, 8, v5
	v_cmp_ne_u32_e32 vcc_lo, 0, v2
	v_bfe_u32 v9, v5, 20, 11
	v_lshrrev_b32_e32 v3, 16, v3
	v_sub_nc_u32_e32 v10, 0x3f1, v7
	v_add_nc_u32_e32 v7, 0xfffffc10, v7
	s_wait_alu 0xfffd
	v_cndmask_b32_e64 v2, 0, 1, vcc_lo
	v_cmp_ne_u32_e32 vcc_lo, 0, v4
	v_lshrrev_b32_e32 v5, 16, v5
	s_delay_alu instid0(VALU_DEP_3) | instskip(SKIP_4) | instid1(VALU_DEP_3)
	v_and_or_b32 v2, 0xffe, v6, v2
	s_wait_alu 0xfffd
	v_cndmask_b32_e64 v4, 0, 1, vcc_lo
	v_sub_nc_u32_e32 v6, 0x3f1, v9
	v_add_nc_u32_e32 v9, 0xfffffc10, v9
	v_and_or_b32 v4, 0xffe, v8, v4
	v_med3_i32 v8, v10, 0, 13
	v_or_b32_e32 v10, 0x1000, v2
	v_med3_i32 v6, v6, 0, 13
	s_delay_alu instid0(VALU_DEP_4) | instskip(NEXT) | instid1(VALU_DEP_3)
	v_or_b32_e32 v11, 0x1000, v4
	v_lshrrev_b32_e32 v12, v8, v10
	s_delay_alu instid0(VALU_DEP_2) | instskip(NEXT) | instid1(VALU_DEP_2)
	v_lshrrev_b32_e32 v13, v6, v11
	v_lshlrev_b32_e32 v8, v8, v12
	s_delay_alu instid0(VALU_DEP_2) | instskip(NEXT) | instid1(VALU_DEP_2)
	v_lshlrev_b32_e32 v6, v6, v13
	v_cmp_ne_u32_e32 vcc_lo, v8, v10
	v_lshl_or_b32 v10, v7, 12, v2
	s_wait_alu 0xfffd
	v_cndmask_b32_e64 v8, 0, 1, vcc_lo
	v_cmp_ne_u32_e32 vcc_lo, v6, v11
	v_lshl_or_b32 v11, v9, 12, v4
	s_delay_alu instid0(VALU_DEP_3) | instskip(SKIP_3) | instid1(VALU_DEP_2)
	v_or_b32_e32 v8, v12, v8
	s_wait_alu 0xfffd
	v_cndmask_b32_e64 v6, 0, 1, vcc_lo
	v_cmp_gt_i32_e32 vcc_lo, 1, v7
	v_or_b32_e32 v6, v13, v6
	s_wait_alu 0xfffd
	v_cndmask_b32_e32 v8, v10, v8, vcc_lo
	v_cmp_gt_i32_e32 vcc_lo, 1, v9
	s_delay_alu instid0(VALU_DEP_2)
	v_and_b32_e32 v10, 7, v8
	s_wait_alu 0xfffd
	v_cndmask_b32_e32 v6, v11, v6, vcc_lo
	v_cmp_ne_u32_e32 vcc_lo, 0, v2
	v_lshrrev_b32_e32 v8, 2, v8
	v_cmp_eq_u32_e64 s0, 3, v10
	s_delay_alu instid0(VALU_DEP_4)
	v_and_b32_e32 v11, 7, v6
	s_wait_alu 0xfffd
	v_cndmask_b32_e64 v2, 0, 1, vcc_lo
	v_cmp_ne_u32_e32 vcc_lo, 0, v4
	v_lshrrev_b32_e32 v6, 2, v6
	v_cmp_lt_i32_e64 s1, 5, v11
	v_cmp_eq_u32_e64 s2, 3, v11
	s_wait_alu 0xfffd
	v_cndmask_b32_e64 v4, 0, 1, vcc_lo
	v_cmp_lt_i32_e32 vcc_lo, 5, v10
	v_lshl_or_b32 v2, v2, 9, 0x7c00
	s_delay_alu instid0(VALU_DEP_3)
	v_lshl_or_b32 v4, v4, 9, 0x7c00
	s_or_b32 vcc_lo, s0, vcc_lo
	s_wait_alu 0xfffe
	v_add_co_ci_u32_e32 v8, vcc_lo, 0, v8, vcc_lo
	s_or_b32 vcc_lo, s2, s1
	s_wait_alu 0xfffe
	v_add_co_ci_u32_e32 v6, vcc_lo, 0, v6, vcc_lo
	v_cmp_gt_i32_e32 vcc_lo, 31, v7
	s_wait_alu 0xfffd
	v_cndmask_b32_e32 v8, 0x7c00, v8, vcc_lo
	v_cmp_gt_i32_e32 vcc_lo, 31, v9
	s_wait_alu 0xfffd
	v_cndmask_b32_e32 v6, 0x7c00, v6, vcc_lo
	v_cmp_eq_u32_e32 vcc_lo, 0x40f, v7
	s_wait_alu 0xfffd
	v_cndmask_b32_e32 v2, v8, v2, vcc_lo
	v_cmp_eq_u32_e32 vcc_lo, 0x40f, v9
	s_delay_alu instid0(VALU_DEP_2)
	v_and_or_b32 v2, 0x8000, v3, v2
	s_wait_alu 0xfffd
	v_cndmask_b32_e32 v4, v6, v4, vcc_lo
	v_add_co_u32 v0, vcc_lo, v0, s6
	s_wait_alu 0xfffd
	v_add_co_ci_u32_e32 v1, vcc_lo, s7, v1, vcc_lo
	s_delay_alu instid0(VALU_DEP_3) | instskip(SKIP_1) | instid1(VALU_DEP_1)
	v_and_or_b32 v3, 0x8000, v5, v4
	v_and_b32_e32 v2, 0xffff, v2
	v_lshl_or_b32 v2, v3, 16, v2
	global_store_b32 v[0:1], v2, off
.LBB0_23:
	s_nop 0
	s_sendmsg sendmsg(MSG_DEALLOC_VGPRS)
	s_endpgm
	.section	.rodata,"a",@progbits
	.p2align	6, 0x0
	.amdhsa_kernel bluestein_single_back_len1650_dim1_half_op_CI_CI
		.amdhsa_group_segment_fixed_size 6600
		.amdhsa_private_segment_fixed_size 0
		.amdhsa_kernarg_size 104
		.amdhsa_user_sgpr_count 2
		.amdhsa_user_sgpr_dispatch_ptr 0
		.amdhsa_user_sgpr_queue_ptr 0
		.amdhsa_user_sgpr_kernarg_segment_ptr 1
		.amdhsa_user_sgpr_dispatch_id 0
		.amdhsa_user_sgpr_private_segment_size 0
		.amdhsa_wavefront_size32 1
		.amdhsa_uses_dynamic_stack 0
		.amdhsa_enable_private_segment 0
		.amdhsa_system_sgpr_workgroup_id_x 1
		.amdhsa_system_sgpr_workgroup_id_y 0
		.amdhsa_system_sgpr_workgroup_id_z 0
		.amdhsa_system_sgpr_workgroup_info 0
		.amdhsa_system_vgpr_workitem_id 0
		.amdhsa_next_free_vgpr 241
		.amdhsa_next_free_sgpr 16
		.amdhsa_reserve_vcc 1
		.amdhsa_float_round_mode_32 0
		.amdhsa_float_round_mode_16_64 0
		.amdhsa_float_denorm_mode_32 3
		.amdhsa_float_denorm_mode_16_64 3
		.amdhsa_fp16_overflow 0
		.amdhsa_workgroup_processor_mode 1
		.amdhsa_memory_ordered 1
		.amdhsa_forward_progress 0
		.amdhsa_round_robin_scheduling 0
		.amdhsa_exception_fp_ieee_invalid_op 0
		.amdhsa_exception_fp_denorm_src 0
		.amdhsa_exception_fp_ieee_div_zero 0
		.amdhsa_exception_fp_ieee_overflow 0
		.amdhsa_exception_fp_ieee_underflow 0
		.amdhsa_exception_fp_ieee_inexact 0
		.amdhsa_exception_int_div_zero 0
	.end_amdhsa_kernel
	.text
.Lfunc_end0:
	.size	bluestein_single_back_len1650_dim1_half_op_CI_CI, .Lfunc_end0-bluestein_single_back_len1650_dim1_half_op_CI_CI
                                        ; -- End function
	.section	.AMDGPU.csdata,"",@progbits
; Kernel info:
; codeLenInByte = 44460
; NumSgprs: 18
; NumVgprs: 241
; ScratchSize: 0
; MemoryBound: 0
; FloatMode: 240
; IeeeMode: 1
; LDSByteSize: 6600 bytes/workgroup (compile time only)
; SGPRBlocks: 2
; VGPRBlocks: 30
; NumSGPRsForWavesPerEU: 18
; NumVGPRsForWavesPerEU: 241
; Occupancy: 5
; WaveLimiterHint : 1
; COMPUTE_PGM_RSRC2:SCRATCH_EN: 0
; COMPUTE_PGM_RSRC2:USER_SGPR: 2
; COMPUTE_PGM_RSRC2:TRAP_HANDLER: 0
; COMPUTE_PGM_RSRC2:TGID_X_EN: 1
; COMPUTE_PGM_RSRC2:TGID_Y_EN: 0
; COMPUTE_PGM_RSRC2:TGID_Z_EN: 0
; COMPUTE_PGM_RSRC2:TIDIG_COMP_CNT: 0
	.text
	.p2alignl 7, 3214868480
	.fill 96, 4, 3214868480
	.type	__hip_cuid_33894ddf4fdfa4ff,@object ; @__hip_cuid_33894ddf4fdfa4ff
	.section	.bss,"aw",@nobits
	.globl	__hip_cuid_33894ddf4fdfa4ff
__hip_cuid_33894ddf4fdfa4ff:
	.byte	0                               ; 0x0
	.size	__hip_cuid_33894ddf4fdfa4ff, 1

	.ident	"AMD clang version 19.0.0git (https://github.com/RadeonOpenCompute/llvm-project roc-6.4.0 25133 c7fe45cf4b819c5991fe208aaa96edf142730f1d)"
	.section	".note.GNU-stack","",@progbits
	.addrsig
	.addrsig_sym __hip_cuid_33894ddf4fdfa4ff
	.amdgpu_metadata
---
amdhsa.kernels:
  - .args:
      - .actual_access:  read_only
        .address_space:  global
        .offset:         0
        .size:           8
        .value_kind:     global_buffer
      - .actual_access:  read_only
        .address_space:  global
        .offset:         8
        .size:           8
        .value_kind:     global_buffer
      - .actual_access:  read_only
        .address_space:  global
        .offset:         16
        .size:           8
        .value_kind:     global_buffer
      - .actual_access:  read_only
        .address_space:  global
        .offset:         24
        .size:           8
        .value_kind:     global_buffer
      - .actual_access:  read_only
        .address_space:  global
        .offset:         32
        .size:           8
        .value_kind:     global_buffer
      - .offset:         40
        .size:           8
        .value_kind:     by_value
      - .address_space:  global
        .offset:         48
        .size:           8
        .value_kind:     global_buffer
      - .address_space:  global
        .offset:         56
        .size:           8
        .value_kind:     global_buffer
      - .address_space:  global
        .offset:         64
        .size:           8
        .value_kind:     global_buffer
      - .address_space:  global
        .offset:         72
        .size:           8
        .value_kind:     global_buffer
      - .offset:         80
        .size:           4
        .value_kind:     by_value
      - .address_space:  global
        .offset:         88
        .size:           8
        .value_kind:     global_buffer
      - .address_space:  global
        .offset:         96
        .size:           8
        .value_kind:     global_buffer
    .group_segment_fixed_size: 6600
    .kernarg_segment_align: 8
    .kernarg_segment_size: 104
    .language:       OpenCL C
    .language_version:
      - 2
      - 0
    .max_flat_workgroup_size: 110
    .name:           bluestein_single_back_len1650_dim1_half_op_CI_CI
    .private_segment_fixed_size: 0
    .sgpr_count:     18
    .sgpr_spill_count: 0
    .symbol:         bluestein_single_back_len1650_dim1_half_op_CI_CI.kd
    .uniform_work_group_size: 1
    .uses_dynamic_stack: false
    .vgpr_count:     241
    .vgpr_spill_count: 0
    .wavefront_size: 32
    .workgroup_processor_mode: 1
amdhsa.target:   amdgcn-amd-amdhsa--gfx1201
amdhsa.version:
  - 1
  - 2
...

	.end_amdgpu_metadata
